;; amdgpu-corpus repo=ROCm/rocSOLVER kind=compiled arch=gfx1030 opt=O3
	.amdgcn_target "amdgcn-amd-amdhsa--gfx1030"
	.amdhsa_code_object_version 6
	.section	.text._ZN9rocsolver6v33100L10ger_kernelI19rocblas_complex_numIdEiPKS3_PS3_S6_S6_EEvT0_S7_T1_lT2_lS7_lT3_lS7_lT4_lS7_S7_l,"axG",@progbits,_ZN9rocsolver6v33100L10ger_kernelI19rocblas_complex_numIdEiPKS3_PS3_S6_S6_EEvT0_S7_T1_lT2_lS7_lT3_lS7_lT4_lS7_S7_l,comdat
	.globl	_ZN9rocsolver6v33100L10ger_kernelI19rocblas_complex_numIdEiPKS3_PS3_S6_S6_EEvT0_S7_T1_lT2_lS7_lT3_lS7_lT4_lS7_S7_l ; -- Begin function _ZN9rocsolver6v33100L10ger_kernelI19rocblas_complex_numIdEiPKS3_PS3_S6_S6_EEvT0_S7_T1_lT2_lS7_lT3_lS7_lT4_lS7_S7_l
	.p2align	8
	.type	_ZN9rocsolver6v33100L10ger_kernelI19rocblas_complex_numIdEiPKS3_PS3_S6_S6_EEvT0_S7_T1_lT2_lS7_lT3_lS7_lT4_lS7_S7_l,@function
_ZN9rocsolver6v33100L10ger_kernelI19rocblas_complex_numIdEiPKS3_PS3_S6_S6_EEvT0_S7_T1_lT2_lS7_lT3_lS7_lT4_lS7_S7_l: ; @_ZN9rocsolver6v33100L10ger_kernelI19rocblas_complex_numIdEiPKS3_PS3_S6_S6_EEvT0_S7_T1_lT2_lS7_lT3_lS7_lT4_lS7_S7_l
; %bb.0:
	s_clause 0x1
	s_load_dword s2, s[4:5], 0x84
	s_load_dwordx2 s[0:1], s[4:5], 0x0
	s_waitcnt lgkmcnt(0)
	s_lshr_b32 s3, s2, 16
	s_and_b32 s2, s2, 0xffff
	v_mad_u64_u32 v[2:3], null, s6, s2, v[0:1]
	v_mad_u64_u32 v[0:1], null, s7, s3, v[1:2]
	v_cmp_gt_i32_e32 vcc_lo, s0, v2
	v_cmp_gt_i32_e64 s0, s1, v0
	s_and_b32 s0, vcc_lo, s0
	s_and_saveexec_b32 s1, s0
	s_cbranch_execz .LBB0_2
; %bb.1:
	s_clause 0x4
	s_load_dwordx8 s[20:27], s[4:5], 0x50
	s_load_dwordx4 s[0:3], s[4:5], 0x30
	s_load_dword s9, s[4:5], 0x28
	s_load_dwordx2 s[6:7], s[4:5], 0x40
	s_load_dwordx8 s[12:19], s[4:5], 0x8
	s_ashr_i32 s28, s8, 31
	s_waitcnt lgkmcnt(0)
	s_load_dword s15, s[4:5], 0x48
	s_mul_hi_u32 s11, s20, s8
	s_mul_i32 s29, s20, s28
	s_mul_i32 s21, s21, s8
	s_add_i32 s11, s11, s29
	s_mul_i32 s10, s20, s8
	v_mul_lo_u32 v3, v2, s9
	s_add_i32 s11, s11, s21
	s_mul_hi_u32 s20, s0, s8
	s_lshl_b64 s[10:11], s[10:11], 4
	s_mul_i32 s9, s0, s28
	s_add_u32 s10, s2, s10
	s_addc_u32 s11, s3, s11
	s_lshl_b64 s[2:3], s[6:7], 4
	s_mul_i32 s1, s1, s8
	s_add_u32 s2, s10, s2
	v_ashrrev_i32_e32 v4, 31, v3
	s_addc_u32 s3, s11, s3
	s_add_i32 s6, s20, s9
	s_mul_i32 s0, s0, s8
	s_add_i32 s1, s6, s1
	v_lshlrev_b64 v[3:4], 4, v[3:4]
	s_lshl_b64 s[0:1], s[0:1], 4
	v_mul_lo_u32 v1, v2, s26
	s_add_u32 s6, s16, s0
	s_addc_u32 s7, s17, s1
	s_lshl_b64 s[0:1], s[18:19], 4
	s_add_u32 s0, s6, s0
	s_addc_u32 s1, s7, s1
	v_add_co_u32 v3, vcc_lo, s0, v3
	v_add_co_ci_u32_e64 v4, null, s1, v4, vcc_lo
	s_load_dwordx2 s[0:1], s[4:5], 0x70
	s_waitcnt lgkmcnt(0)
	v_mul_lo_u32 v7, v0, s15
	v_mad_u64_u32 v[0:1], null, v0, s27, v[1:2]
	global_load_dwordx4 v[3:6], v[3:4], off
	v_ashrrev_i32_e32 v8, 31, v7
	v_ashrrev_i32_e32 v1, 31, v0
	v_lshlrev_b64 v[7:8], 4, v[7:8]
	v_lshlrev_b64 v[0:1], 4, v[0:1]
	v_add_co_u32 v7, vcc_lo, s2, v7
	v_add_co_ci_u32_e64 v8, null, s3, v8, vcc_lo
	s_mul_hi_u32 s2, s0, s8
	s_mul_i32 s3, s0, s28
	s_mul_i32 s1, s1, s8
	global_load_dwordx4 v[7:10], v[7:8], off
	s_add_i32 s2, s2, s3
	s_mul_i32 s0, s0, s8
	s_add_i32 s1, s2, s1
	s_lshl_b64 s[0:1], s[0:1], 4
	s_add_u32 s2, s22, s0
	s_addc_u32 s3, s23, s1
	s_lshl_b64 s[0:1], s[24:25], 4
	s_add_u32 s0, s2, s0
	s_addc_u32 s1, s3, s1
	v_add_co_u32 v15, vcc_lo, s0, v0
	v_add_co_ci_u32_e64 v16, null, s1, v1, vcc_lo
	s_mul_i32 s0, s8, s14
	s_ashr_i32 s1, s0, 31
	global_load_dwordx4 v[11:14], v[15:16], off
	s_lshl_b64 s[0:1], s[0:1], 4
	s_add_u32 s0, s12, s0
	s_addc_u32 s1, s13, s1
	s_load_dwordx4 s[0:3], s[0:1], 0x0
	s_waitcnt vmcnt(2) lgkmcnt(0)
	v_mul_f64 v[0:1], s[0:1], v[5:6]
	v_mul_f64 v[5:6], s[2:3], v[5:6]
	v_fma_f64 v[0:1], s[2:3], v[3:4], v[0:1]
	v_fma_f64 v[2:3], s[0:1], v[3:4], -v[5:6]
	s_waitcnt vmcnt(1)
	v_mul_f64 v[4:5], v[9:10], v[0:1]
	v_mul_f64 v[0:1], v[7:8], v[0:1]
	v_fma_f64 v[4:5], v[7:8], v[2:3], -v[4:5]
	v_fma_f64 v[2:3], v[9:10], v[2:3], v[0:1]
	s_waitcnt vmcnt(0)
	v_add_f64 v[0:1], v[11:12], v[4:5]
	v_add_f64 v[2:3], v[2:3], v[13:14]
	global_store_dwordx4 v[15:16], v[0:3], off
.LBB0_2:
	s_endpgm
	.section	.rodata,"a",@progbits
	.p2align	6, 0x0
	.amdhsa_kernel _ZN9rocsolver6v33100L10ger_kernelI19rocblas_complex_numIdEiPKS3_PS3_S6_S6_EEvT0_S7_T1_lT2_lS7_lT3_lS7_lT4_lS7_S7_l
		.amdhsa_group_segment_fixed_size 0
		.amdhsa_private_segment_fixed_size 0
		.amdhsa_kernarg_size 376
		.amdhsa_user_sgpr_count 6
		.amdhsa_user_sgpr_private_segment_buffer 1
		.amdhsa_user_sgpr_dispatch_ptr 0
		.amdhsa_user_sgpr_queue_ptr 0
		.amdhsa_user_sgpr_kernarg_segment_ptr 1
		.amdhsa_user_sgpr_dispatch_id 0
		.amdhsa_user_sgpr_flat_scratch_init 0
		.amdhsa_user_sgpr_private_segment_size 0
		.amdhsa_wavefront_size32 1
		.amdhsa_uses_dynamic_stack 0
		.amdhsa_system_sgpr_private_segment_wavefront_offset 0
		.amdhsa_system_sgpr_workgroup_id_x 1
		.amdhsa_system_sgpr_workgroup_id_y 1
		.amdhsa_system_sgpr_workgroup_id_z 1
		.amdhsa_system_sgpr_workgroup_info 0
		.amdhsa_system_vgpr_workitem_id 1
		.amdhsa_next_free_vgpr 17
		.amdhsa_next_free_sgpr 30
		.amdhsa_reserve_vcc 1
		.amdhsa_reserve_flat_scratch 0
		.amdhsa_float_round_mode_32 0
		.amdhsa_float_round_mode_16_64 0
		.amdhsa_float_denorm_mode_32 3
		.amdhsa_float_denorm_mode_16_64 3
		.amdhsa_dx10_clamp 1
		.amdhsa_ieee_mode 1
		.amdhsa_fp16_overflow 0
		.amdhsa_workgroup_processor_mode 1
		.amdhsa_memory_ordered 1
		.amdhsa_forward_progress 1
		.amdhsa_shared_vgpr_count 0
		.amdhsa_exception_fp_ieee_invalid_op 0
		.amdhsa_exception_fp_denorm_src 0
		.amdhsa_exception_fp_ieee_div_zero 0
		.amdhsa_exception_fp_ieee_overflow 0
		.amdhsa_exception_fp_ieee_underflow 0
		.amdhsa_exception_fp_ieee_inexact 0
		.amdhsa_exception_int_div_zero 0
	.end_amdhsa_kernel
	.section	.text._ZN9rocsolver6v33100L10ger_kernelI19rocblas_complex_numIdEiPKS3_PS3_S6_S6_EEvT0_S7_T1_lT2_lS7_lT3_lS7_lT4_lS7_S7_l,"axG",@progbits,_ZN9rocsolver6v33100L10ger_kernelI19rocblas_complex_numIdEiPKS3_PS3_S6_S6_EEvT0_S7_T1_lT2_lS7_lT3_lS7_lT4_lS7_S7_l,comdat
.Lfunc_end0:
	.size	_ZN9rocsolver6v33100L10ger_kernelI19rocblas_complex_numIdEiPKS3_PS3_S6_S6_EEvT0_S7_T1_lT2_lS7_lT3_lS7_lT4_lS7_S7_l, .Lfunc_end0-_ZN9rocsolver6v33100L10ger_kernelI19rocblas_complex_numIdEiPKS3_PS3_S6_S6_EEvT0_S7_T1_lT2_lS7_lT3_lS7_lT4_lS7_S7_l
                                        ; -- End function
	.set _ZN9rocsolver6v33100L10ger_kernelI19rocblas_complex_numIdEiPKS3_PS3_S6_S6_EEvT0_S7_T1_lT2_lS7_lT3_lS7_lT4_lS7_S7_l.num_vgpr, 17
	.set _ZN9rocsolver6v33100L10ger_kernelI19rocblas_complex_numIdEiPKS3_PS3_S6_S6_EEvT0_S7_T1_lT2_lS7_lT3_lS7_lT4_lS7_S7_l.num_agpr, 0
	.set _ZN9rocsolver6v33100L10ger_kernelI19rocblas_complex_numIdEiPKS3_PS3_S6_S6_EEvT0_S7_T1_lT2_lS7_lT3_lS7_lT4_lS7_S7_l.numbered_sgpr, 30
	.set _ZN9rocsolver6v33100L10ger_kernelI19rocblas_complex_numIdEiPKS3_PS3_S6_S6_EEvT0_S7_T1_lT2_lS7_lT3_lS7_lT4_lS7_S7_l.num_named_barrier, 0
	.set _ZN9rocsolver6v33100L10ger_kernelI19rocblas_complex_numIdEiPKS3_PS3_S6_S6_EEvT0_S7_T1_lT2_lS7_lT3_lS7_lT4_lS7_S7_l.private_seg_size, 0
	.set _ZN9rocsolver6v33100L10ger_kernelI19rocblas_complex_numIdEiPKS3_PS3_S6_S6_EEvT0_S7_T1_lT2_lS7_lT3_lS7_lT4_lS7_S7_l.uses_vcc, 1
	.set _ZN9rocsolver6v33100L10ger_kernelI19rocblas_complex_numIdEiPKS3_PS3_S6_S6_EEvT0_S7_T1_lT2_lS7_lT3_lS7_lT4_lS7_S7_l.uses_flat_scratch, 0
	.set _ZN9rocsolver6v33100L10ger_kernelI19rocblas_complex_numIdEiPKS3_PS3_S6_S6_EEvT0_S7_T1_lT2_lS7_lT3_lS7_lT4_lS7_S7_l.has_dyn_sized_stack, 0
	.set _ZN9rocsolver6v33100L10ger_kernelI19rocblas_complex_numIdEiPKS3_PS3_S6_S6_EEvT0_S7_T1_lT2_lS7_lT3_lS7_lT4_lS7_S7_l.has_recursion, 0
	.set _ZN9rocsolver6v33100L10ger_kernelI19rocblas_complex_numIdEiPKS3_PS3_S6_S6_EEvT0_S7_T1_lT2_lS7_lT3_lS7_lT4_lS7_S7_l.has_indirect_call, 0
	.section	.AMDGPU.csdata,"",@progbits
; Kernel info:
; codeLenInByte = 564
; TotalNumSgprs: 32
; NumVgprs: 17
; ScratchSize: 0
; MemoryBound: 0
; FloatMode: 240
; IeeeMode: 1
; LDSByteSize: 0 bytes/workgroup (compile time only)
; SGPRBlocks: 0
; VGPRBlocks: 2
; NumSGPRsForWavesPerEU: 32
; NumVGPRsForWavesPerEU: 17
; Occupancy: 16
; WaveLimiterHint : 0
; COMPUTE_PGM_RSRC2:SCRATCH_EN: 0
; COMPUTE_PGM_RSRC2:USER_SGPR: 6
; COMPUTE_PGM_RSRC2:TRAP_HANDLER: 0
; COMPUTE_PGM_RSRC2:TGID_X_EN: 1
; COMPUTE_PGM_RSRC2:TGID_Y_EN: 1
; COMPUTE_PGM_RSRC2:TGID_Z_EN: 1
; COMPUTE_PGM_RSRC2:TIDIG_COMP_CNT: 1
	.section	.text._ZN9rocsolver6v33100L10ger_kernelI19rocblas_complex_numIdEiS3_PS3_S4_S4_EEvT0_S5_T1_lT2_lS5_lT3_lS5_lT4_lS5_S5_l,"axG",@progbits,_ZN9rocsolver6v33100L10ger_kernelI19rocblas_complex_numIdEiS3_PS3_S4_S4_EEvT0_S5_T1_lT2_lS5_lT3_lS5_lT4_lS5_S5_l,comdat
	.globl	_ZN9rocsolver6v33100L10ger_kernelI19rocblas_complex_numIdEiS3_PS3_S4_S4_EEvT0_S5_T1_lT2_lS5_lT3_lS5_lT4_lS5_S5_l ; -- Begin function _ZN9rocsolver6v33100L10ger_kernelI19rocblas_complex_numIdEiS3_PS3_S4_S4_EEvT0_S5_T1_lT2_lS5_lT3_lS5_lT4_lS5_S5_l
	.p2align	8
	.type	_ZN9rocsolver6v33100L10ger_kernelI19rocblas_complex_numIdEiS3_PS3_S4_S4_EEvT0_S5_T1_lT2_lS5_lT3_lS5_lT4_lS5_S5_l,@function
_ZN9rocsolver6v33100L10ger_kernelI19rocblas_complex_numIdEiS3_PS3_S4_S4_EEvT0_S5_T1_lT2_lS5_lT3_lS5_lT4_lS5_S5_l: ; @_ZN9rocsolver6v33100L10ger_kernelI19rocblas_complex_numIdEiS3_PS3_S4_S4_EEvT0_S5_T1_lT2_lS5_lT3_lS5_lT4_lS5_S5_l
; %bb.0:
	s_clause 0x1
	s_load_dword s2, s[4:5], 0x8c
	s_load_dwordx2 s[0:1], s[4:5], 0x0
	s_waitcnt lgkmcnt(0)
	s_lshr_b32 s3, s2, 16
	s_and_b32 s2, s2, 0xffff
	v_mad_u64_u32 v[2:3], null, s6, s2, v[0:1]
	v_mad_u64_u32 v[0:1], null, s7, s3, v[1:2]
	v_cmp_gt_i32_e32 vcc_lo, s0, v2
	v_cmp_gt_i32_e64 s0, s1, v0
	s_and_b32 s0, vcc_lo, s0
	s_and_saveexec_b32 s1, s0
	s_cbranch_execz .LBB1_2
; %bb.1:
	s_clause 0x5
	s_load_dwordx8 s[12:19], s[4:5], 0x58
	s_load_dwordx4 s[20:23], s[4:5], 0x38
	s_load_dword s9, s[4:5], 0x30
	s_load_dwordx2 s[6:7], s[4:5], 0x48
	s_load_dwordx4 s[0:3], s[4:5], 0x20
	s_load_dword s24, s[4:5], 0x50
	s_ashr_i32 s25, s8, 31
	s_waitcnt lgkmcnt(0)
	s_mul_hi_u32 s11, s12, s8
	s_mul_i32 s26, s12, s25
	s_mul_i32 s13, s13, s8
	s_add_i32 s11, s11, s26
	s_mul_i32 s10, s12, s8
	v_mul_lo_u32 v3, v2, s9
	s_add_i32 s11, s11, s13
	s_mul_hi_u32 s12, s20, s8
	s_lshl_b64 s[10:11], s[10:11], 4
	s_mul_i32 s9, s20, s25
	s_add_u32 s10, s22, s10
	s_addc_u32 s11, s23, s11
	s_lshl_b64 s[6:7], s[6:7], 4
	s_mul_i32 s13, s21, s8
	s_add_u32 s10, s10, s6
	v_ashrrev_i32_e32 v4, 31, v3
	s_addc_u32 s11, s11, s7
	s_add_i32 s7, s12, s9
	s_mul_i32 s6, s20, s8
	s_add_i32 s7, s7, s13
	v_lshlrev_b64 v[3:4], 4, v[3:4]
	s_lshl_b64 s[6:7], s[6:7], 4
	v_mul_lo_u32 v7, v0, s24
	s_add_u32 s6, s0, s6
	s_addc_u32 s7, s1, s7
	s_lshl_b64 s[0:1], s[2:3], 4
	v_mul_lo_u32 v1, v2, s18
	s_add_u32 s0, s6, s0
	s_addc_u32 s1, s7, s1
	v_add_co_u32 v3, vcc_lo, s0, v3
	v_add_co_ci_u32_e64 v4, null, s1, v4, vcc_lo
	v_ashrrev_i32_e32 v8, 31, v7
	s_load_dwordx2 s[0:1], s[4:5], 0x78
	v_mad_u64_u32 v[0:1], null, v0, s19, v[1:2]
	global_load_dwordx4 v[3:6], v[3:4], off
	v_lshlrev_b64 v[7:8], 4, v[7:8]
	v_ashrrev_i32_e32 v1, 31, v0
	v_add_co_u32 v7, vcc_lo, s10, v7
	v_add_co_ci_u32_e64 v8, null, s11, v8, vcc_lo
	v_lshlrev_b64 v[0:1], 4, v[0:1]
	global_load_dwordx4 v[7:10], v[7:8], off
	s_waitcnt lgkmcnt(0)
	s_mul_hi_u32 s2, s0, s8
	s_mul_i32 s3, s0, s25
	s_mul_i32 s1, s1, s8
	s_add_i32 s2, s2, s3
	s_mul_i32 s0, s0, s8
	s_add_i32 s1, s2, s1
	s_lshl_b64 s[0:1], s[0:1], 4
	s_add_u32 s2, s14, s0
	s_addc_u32 s3, s15, s1
	s_lshl_b64 s[0:1], s[16:17], 4
	s_add_u32 s0, s2, s0
	s_addc_u32 s1, s3, s1
	v_add_co_u32 v15, vcc_lo, s0, v0
	v_add_co_ci_u32_e64 v16, null, s1, v1, vcc_lo
	s_load_dwordx4 s[0:3], s[4:5], 0x8
	global_load_dwordx4 v[11:14], v[15:16], off
	s_waitcnt vmcnt(2) lgkmcnt(0)
	v_mul_f64 v[0:1], s[0:1], v[5:6]
	v_mul_f64 v[5:6], s[2:3], v[5:6]
	v_fma_f64 v[0:1], s[2:3], v[3:4], v[0:1]
	v_fma_f64 v[2:3], s[0:1], v[3:4], -v[5:6]
	s_waitcnt vmcnt(1)
	v_mul_f64 v[4:5], v[9:10], v[0:1]
	v_mul_f64 v[0:1], v[7:8], v[0:1]
	v_fma_f64 v[4:5], v[7:8], v[2:3], -v[4:5]
	v_fma_f64 v[2:3], v[9:10], v[2:3], v[0:1]
	s_waitcnt vmcnt(0)
	v_add_f64 v[0:1], v[11:12], v[4:5]
	v_add_f64 v[2:3], v[2:3], v[13:14]
	global_store_dwordx4 v[15:16], v[0:3], off
.LBB1_2:
	s_endpgm
	.section	.rodata,"a",@progbits
	.p2align	6, 0x0
	.amdhsa_kernel _ZN9rocsolver6v33100L10ger_kernelI19rocblas_complex_numIdEiS3_PS3_S4_S4_EEvT0_S5_T1_lT2_lS5_lT3_lS5_lT4_lS5_S5_l
		.amdhsa_group_segment_fixed_size 0
		.amdhsa_private_segment_fixed_size 0
		.amdhsa_kernarg_size 384
		.amdhsa_user_sgpr_count 6
		.amdhsa_user_sgpr_private_segment_buffer 1
		.amdhsa_user_sgpr_dispatch_ptr 0
		.amdhsa_user_sgpr_queue_ptr 0
		.amdhsa_user_sgpr_kernarg_segment_ptr 1
		.amdhsa_user_sgpr_dispatch_id 0
		.amdhsa_user_sgpr_flat_scratch_init 0
		.amdhsa_user_sgpr_private_segment_size 0
		.amdhsa_wavefront_size32 1
		.amdhsa_uses_dynamic_stack 0
		.amdhsa_system_sgpr_private_segment_wavefront_offset 0
		.amdhsa_system_sgpr_workgroup_id_x 1
		.amdhsa_system_sgpr_workgroup_id_y 1
		.amdhsa_system_sgpr_workgroup_id_z 1
		.amdhsa_system_sgpr_workgroup_info 0
		.amdhsa_system_vgpr_workitem_id 1
		.amdhsa_next_free_vgpr 17
		.amdhsa_next_free_sgpr 27
		.amdhsa_reserve_vcc 1
		.amdhsa_reserve_flat_scratch 0
		.amdhsa_float_round_mode_32 0
		.amdhsa_float_round_mode_16_64 0
		.amdhsa_float_denorm_mode_32 3
		.amdhsa_float_denorm_mode_16_64 3
		.amdhsa_dx10_clamp 1
		.amdhsa_ieee_mode 1
		.amdhsa_fp16_overflow 0
		.amdhsa_workgroup_processor_mode 1
		.amdhsa_memory_ordered 1
		.amdhsa_forward_progress 1
		.amdhsa_shared_vgpr_count 0
		.amdhsa_exception_fp_ieee_invalid_op 0
		.amdhsa_exception_fp_denorm_src 0
		.amdhsa_exception_fp_ieee_div_zero 0
		.amdhsa_exception_fp_ieee_overflow 0
		.amdhsa_exception_fp_ieee_underflow 0
		.amdhsa_exception_fp_ieee_inexact 0
		.amdhsa_exception_int_div_zero 0
	.end_amdhsa_kernel
	.section	.text._ZN9rocsolver6v33100L10ger_kernelI19rocblas_complex_numIdEiS3_PS3_S4_S4_EEvT0_S5_T1_lT2_lS5_lT3_lS5_lT4_lS5_S5_l,"axG",@progbits,_ZN9rocsolver6v33100L10ger_kernelI19rocblas_complex_numIdEiS3_PS3_S4_S4_EEvT0_S5_T1_lT2_lS5_lT3_lS5_lT4_lS5_S5_l,comdat
.Lfunc_end1:
	.size	_ZN9rocsolver6v33100L10ger_kernelI19rocblas_complex_numIdEiS3_PS3_S4_S4_EEvT0_S5_T1_lT2_lS5_lT3_lS5_lT4_lS5_S5_l, .Lfunc_end1-_ZN9rocsolver6v33100L10ger_kernelI19rocblas_complex_numIdEiS3_PS3_S4_S4_EEvT0_S5_T1_lT2_lS5_lT3_lS5_lT4_lS5_S5_l
                                        ; -- End function
	.set _ZN9rocsolver6v33100L10ger_kernelI19rocblas_complex_numIdEiS3_PS3_S4_S4_EEvT0_S5_T1_lT2_lS5_lT3_lS5_lT4_lS5_S5_l.num_vgpr, 17
	.set _ZN9rocsolver6v33100L10ger_kernelI19rocblas_complex_numIdEiS3_PS3_S4_S4_EEvT0_S5_T1_lT2_lS5_lT3_lS5_lT4_lS5_S5_l.num_agpr, 0
	.set _ZN9rocsolver6v33100L10ger_kernelI19rocblas_complex_numIdEiS3_PS3_S4_S4_EEvT0_S5_T1_lT2_lS5_lT3_lS5_lT4_lS5_S5_l.numbered_sgpr, 27
	.set _ZN9rocsolver6v33100L10ger_kernelI19rocblas_complex_numIdEiS3_PS3_S4_S4_EEvT0_S5_T1_lT2_lS5_lT3_lS5_lT4_lS5_S5_l.num_named_barrier, 0
	.set _ZN9rocsolver6v33100L10ger_kernelI19rocblas_complex_numIdEiS3_PS3_S4_S4_EEvT0_S5_T1_lT2_lS5_lT3_lS5_lT4_lS5_S5_l.private_seg_size, 0
	.set _ZN9rocsolver6v33100L10ger_kernelI19rocblas_complex_numIdEiS3_PS3_S4_S4_EEvT0_S5_T1_lT2_lS5_lT3_lS5_lT4_lS5_S5_l.uses_vcc, 1
	.set _ZN9rocsolver6v33100L10ger_kernelI19rocblas_complex_numIdEiS3_PS3_S4_S4_EEvT0_S5_T1_lT2_lS5_lT3_lS5_lT4_lS5_S5_l.uses_flat_scratch, 0
	.set _ZN9rocsolver6v33100L10ger_kernelI19rocblas_complex_numIdEiS3_PS3_S4_S4_EEvT0_S5_T1_lT2_lS5_lT3_lS5_lT4_lS5_S5_l.has_dyn_sized_stack, 0
	.set _ZN9rocsolver6v33100L10ger_kernelI19rocblas_complex_numIdEiS3_PS3_S4_S4_EEvT0_S5_T1_lT2_lS5_lT3_lS5_lT4_lS5_S5_l.has_recursion, 0
	.set _ZN9rocsolver6v33100L10ger_kernelI19rocblas_complex_numIdEiS3_PS3_S4_S4_EEvT0_S5_T1_lT2_lS5_lT3_lS5_lT4_lS5_S5_l.has_indirect_call, 0
	.section	.AMDGPU.csdata,"",@progbits
; Kernel info:
; codeLenInByte = 544
; TotalNumSgprs: 29
; NumVgprs: 17
; ScratchSize: 0
; MemoryBound: 0
; FloatMode: 240
; IeeeMode: 1
; LDSByteSize: 0 bytes/workgroup (compile time only)
; SGPRBlocks: 0
; VGPRBlocks: 2
; NumSGPRsForWavesPerEU: 29
; NumVGPRsForWavesPerEU: 17
; Occupancy: 16
; WaveLimiterHint : 1
; COMPUTE_PGM_RSRC2:SCRATCH_EN: 0
; COMPUTE_PGM_RSRC2:USER_SGPR: 6
; COMPUTE_PGM_RSRC2:TRAP_HANDLER: 0
; COMPUTE_PGM_RSRC2:TGID_X_EN: 1
; COMPUTE_PGM_RSRC2:TGID_Y_EN: 1
; COMPUTE_PGM_RSRC2:TGID_Z_EN: 1
; COMPUTE_PGM_RSRC2:TIDIG_COMP_CNT: 1
	.section	.text._ZN9rocsolver6v33100L10ger_kernelI19rocblas_complex_numIdEiPKS3_PKPS3_S8_S8_EEvT0_S9_T1_lT2_lS9_lT3_lS9_lT4_lS9_S9_l,"axG",@progbits,_ZN9rocsolver6v33100L10ger_kernelI19rocblas_complex_numIdEiPKS3_PKPS3_S8_S8_EEvT0_S9_T1_lT2_lS9_lT3_lS9_lT4_lS9_S9_l,comdat
	.globl	_ZN9rocsolver6v33100L10ger_kernelI19rocblas_complex_numIdEiPKS3_PKPS3_S8_S8_EEvT0_S9_T1_lT2_lS9_lT3_lS9_lT4_lS9_S9_l ; -- Begin function _ZN9rocsolver6v33100L10ger_kernelI19rocblas_complex_numIdEiPKS3_PKPS3_S8_S8_EEvT0_S9_T1_lT2_lS9_lT3_lS9_lT4_lS9_S9_l
	.p2align	8
	.type	_ZN9rocsolver6v33100L10ger_kernelI19rocblas_complex_numIdEiPKS3_PKPS3_S8_S8_EEvT0_S9_T1_lT2_lS9_lT3_lS9_lT4_lS9_S9_l,@function
_ZN9rocsolver6v33100L10ger_kernelI19rocblas_complex_numIdEiPKS3_PKPS3_S8_S8_EEvT0_S9_T1_lT2_lS9_lT3_lS9_lT4_lS9_S9_l: ; @_ZN9rocsolver6v33100L10ger_kernelI19rocblas_complex_numIdEiPKS3_PKPS3_S8_S8_EEvT0_S9_T1_lT2_lS9_lT3_lS9_lT4_lS9_S9_l
; %bb.0:
	s_clause 0x1
	s_load_dword s2, s[4:5], 0x84
	s_load_dwordx2 s[0:1], s[4:5], 0x0
	s_waitcnt lgkmcnt(0)
	s_lshr_b32 s3, s2, 16
	s_and_b32 s2, s2, 0xffff
	v_mad_u64_u32 v[2:3], null, s6, s2, v[0:1]
	v_mad_u64_u32 v[0:1], null, s7, s3, v[1:2]
	v_cmp_gt_i32_e32 vcc_lo, s0, v2
	v_cmp_gt_i32_e64 s0, s1, v0
	s_and_b32 s0, vcc_lo, s0
	s_and_saveexec_b32 s1, s0
	s_cbranch_execz .LBB2_2
; %bb.1:
	s_load_dwordx4 s[0:3], s[4:5], 0x38
	s_ashr_i32 s9, s8, 31
	s_lshl_b64 s[6:7], s[8:9], 3
	s_load_dword s9, s[4:5], 0x48
	s_waitcnt lgkmcnt(0)
	s_add_u32 s0, s0, s6
	s_addc_u32 s1, s1, s7
	s_lshl_b64 s[2:3], s[2:3], 4
	s_load_dwordx2 s[0:1], s[0:1], 0x0
	s_clause 0x1
	s_load_dwordx8 s[12:19], s[4:5], 0x8
	s_load_dword s10, s[4:5], 0x28
	v_mul_lo_u32 v7, v0, s9
	v_ashrrev_i32_e32 v8, 31, v7
	v_lshlrev_b64 v[7:8], 4, v[7:8]
	s_waitcnt lgkmcnt(0)
	s_add_u32 s15, s0, s2
	s_addc_u32 s20, s1, s3
	s_add_u32 s0, s16, s6
	s_addc_u32 s1, s17, s7
	v_mul_lo_u32 v3, v2, s10
	s_load_dwordx2 s[0:1], s[0:1], 0x0
	s_lshl_b64 s[2:3], s[18:19], 4
	v_ashrrev_i32_e32 v4, 31, v3
	v_lshlrev_b64 v[3:4], 4, v[3:4]
	s_waitcnt lgkmcnt(0)
	s_add_u32 s0, s0, s2
	s_addc_u32 s1, s1, s3
	v_add_co_u32 v3, vcc_lo, s0, v3
	v_add_co_ci_u32_e64 v4, null, s1, v4, vcc_lo
	v_add_co_u32 v7, vcc_lo, s15, v7
	v_add_co_ci_u32_e64 v8, null, s20, v8, vcc_lo
	flat_load_dwordx4 v[3:6], v[3:4]
	s_clause 0x1
	s_load_dwordx2 s[10:11], s[4:5], 0x68
	s_load_dwordx4 s[0:3], s[4:5], 0x58
	flat_load_dwordx4 v[7:10], v[7:8]
	s_waitcnt lgkmcnt(0)
	v_mul_lo_u32 v1, v2, s10
	s_add_u32 s0, s0, s6
	s_addc_u32 s1, s1, s7
	s_lshl_b64 s[2:3], s[2:3], 4
	s_load_dwordx2 s[0:1], s[0:1], 0x0
	v_mad_u64_u32 v[0:1], null, v0, s11, v[1:2]
	v_ashrrev_i32_e32 v1, 31, v0
	v_lshlrev_b64 v[0:1], 4, v[0:1]
	s_waitcnt lgkmcnt(0)
	s_add_u32 s0, s0, s2
	s_addc_u32 s1, s1, s3
	v_add_co_u32 v15, vcc_lo, s0, v0
	v_add_co_ci_u32_e64 v16, null, s1, v1, vcc_lo
	s_mul_i32 s0, s8, s14
	s_ashr_i32 s1, s0, 31
	flat_load_dwordx4 v[11:14], v[15:16]
	s_lshl_b64 s[0:1], s[0:1], 4
	s_add_u32 s0, s12, s0
	s_addc_u32 s1, s13, s1
	s_load_dwordx4 s[0:3], s[0:1], 0x0
	s_waitcnt vmcnt(2) lgkmcnt(0)
	v_mul_f64 v[0:1], s[0:1], v[5:6]
	v_mul_f64 v[5:6], s[2:3], v[5:6]
	v_fma_f64 v[0:1], s[2:3], v[3:4], v[0:1]
	v_fma_f64 v[2:3], s[0:1], v[3:4], -v[5:6]
	s_waitcnt vmcnt(1)
	v_mul_f64 v[4:5], v[9:10], v[0:1]
	v_mul_f64 v[0:1], v[7:8], v[0:1]
	v_fma_f64 v[4:5], v[7:8], v[2:3], -v[4:5]
	v_fma_f64 v[2:3], v[9:10], v[2:3], v[0:1]
	s_waitcnt vmcnt(0)
	v_add_f64 v[0:1], v[11:12], v[4:5]
	v_add_f64 v[2:3], v[2:3], v[13:14]
	flat_store_dwordx4 v[15:16], v[0:3]
.LBB2_2:
	s_endpgm
	.section	.rodata,"a",@progbits
	.p2align	6, 0x0
	.amdhsa_kernel _ZN9rocsolver6v33100L10ger_kernelI19rocblas_complex_numIdEiPKS3_PKPS3_S8_S8_EEvT0_S9_T1_lT2_lS9_lT3_lS9_lT4_lS9_S9_l
		.amdhsa_group_segment_fixed_size 0
		.amdhsa_private_segment_fixed_size 0
		.amdhsa_kernarg_size 376
		.amdhsa_user_sgpr_count 6
		.amdhsa_user_sgpr_private_segment_buffer 1
		.amdhsa_user_sgpr_dispatch_ptr 0
		.amdhsa_user_sgpr_queue_ptr 0
		.amdhsa_user_sgpr_kernarg_segment_ptr 1
		.amdhsa_user_sgpr_dispatch_id 0
		.amdhsa_user_sgpr_flat_scratch_init 0
		.amdhsa_user_sgpr_private_segment_size 0
		.amdhsa_wavefront_size32 1
		.amdhsa_uses_dynamic_stack 0
		.amdhsa_system_sgpr_private_segment_wavefront_offset 0
		.amdhsa_system_sgpr_workgroup_id_x 1
		.amdhsa_system_sgpr_workgroup_id_y 1
		.amdhsa_system_sgpr_workgroup_id_z 1
		.amdhsa_system_sgpr_workgroup_info 0
		.amdhsa_system_vgpr_workitem_id 1
		.amdhsa_next_free_vgpr 17
		.amdhsa_next_free_sgpr 21
		.amdhsa_reserve_vcc 1
		.amdhsa_reserve_flat_scratch 0
		.amdhsa_float_round_mode_32 0
		.amdhsa_float_round_mode_16_64 0
		.amdhsa_float_denorm_mode_32 3
		.amdhsa_float_denorm_mode_16_64 3
		.amdhsa_dx10_clamp 1
		.amdhsa_ieee_mode 1
		.amdhsa_fp16_overflow 0
		.amdhsa_workgroup_processor_mode 1
		.amdhsa_memory_ordered 1
		.amdhsa_forward_progress 1
		.amdhsa_shared_vgpr_count 0
		.amdhsa_exception_fp_ieee_invalid_op 0
		.amdhsa_exception_fp_denorm_src 0
		.amdhsa_exception_fp_ieee_div_zero 0
		.amdhsa_exception_fp_ieee_overflow 0
		.amdhsa_exception_fp_ieee_underflow 0
		.amdhsa_exception_fp_ieee_inexact 0
		.amdhsa_exception_int_div_zero 0
	.end_amdhsa_kernel
	.section	.text._ZN9rocsolver6v33100L10ger_kernelI19rocblas_complex_numIdEiPKS3_PKPS3_S8_S8_EEvT0_S9_T1_lT2_lS9_lT3_lS9_lT4_lS9_S9_l,"axG",@progbits,_ZN9rocsolver6v33100L10ger_kernelI19rocblas_complex_numIdEiPKS3_PKPS3_S8_S8_EEvT0_S9_T1_lT2_lS9_lT3_lS9_lT4_lS9_S9_l,comdat
.Lfunc_end2:
	.size	_ZN9rocsolver6v33100L10ger_kernelI19rocblas_complex_numIdEiPKS3_PKPS3_S8_S8_EEvT0_S9_T1_lT2_lS9_lT3_lS9_lT4_lS9_S9_l, .Lfunc_end2-_ZN9rocsolver6v33100L10ger_kernelI19rocblas_complex_numIdEiPKS3_PKPS3_S8_S8_EEvT0_S9_T1_lT2_lS9_lT3_lS9_lT4_lS9_S9_l
                                        ; -- End function
	.set _ZN9rocsolver6v33100L10ger_kernelI19rocblas_complex_numIdEiPKS3_PKPS3_S8_S8_EEvT0_S9_T1_lT2_lS9_lT3_lS9_lT4_lS9_S9_l.num_vgpr, 17
	.set _ZN9rocsolver6v33100L10ger_kernelI19rocblas_complex_numIdEiPKS3_PKPS3_S8_S8_EEvT0_S9_T1_lT2_lS9_lT3_lS9_lT4_lS9_S9_l.num_agpr, 0
	.set _ZN9rocsolver6v33100L10ger_kernelI19rocblas_complex_numIdEiPKS3_PKPS3_S8_S8_EEvT0_S9_T1_lT2_lS9_lT3_lS9_lT4_lS9_S9_l.numbered_sgpr, 21
	.set _ZN9rocsolver6v33100L10ger_kernelI19rocblas_complex_numIdEiPKS3_PKPS3_S8_S8_EEvT0_S9_T1_lT2_lS9_lT3_lS9_lT4_lS9_S9_l.num_named_barrier, 0
	.set _ZN9rocsolver6v33100L10ger_kernelI19rocblas_complex_numIdEiPKS3_PKPS3_S8_S8_EEvT0_S9_T1_lT2_lS9_lT3_lS9_lT4_lS9_S9_l.private_seg_size, 0
	.set _ZN9rocsolver6v33100L10ger_kernelI19rocblas_complex_numIdEiPKS3_PKPS3_S8_S8_EEvT0_S9_T1_lT2_lS9_lT3_lS9_lT4_lS9_S9_l.uses_vcc, 1
	.set _ZN9rocsolver6v33100L10ger_kernelI19rocblas_complex_numIdEiPKS3_PKPS3_S8_S8_EEvT0_S9_T1_lT2_lS9_lT3_lS9_lT4_lS9_S9_l.uses_flat_scratch, 0
	.set _ZN9rocsolver6v33100L10ger_kernelI19rocblas_complex_numIdEiPKS3_PKPS3_S8_S8_EEvT0_S9_T1_lT2_lS9_lT3_lS9_lT4_lS9_S9_l.has_dyn_sized_stack, 0
	.set _ZN9rocsolver6v33100L10ger_kernelI19rocblas_complex_numIdEiPKS3_PKPS3_S8_S8_EEvT0_S9_T1_lT2_lS9_lT3_lS9_lT4_lS9_S9_l.has_recursion, 0
	.set _ZN9rocsolver6v33100L10ger_kernelI19rocblas_complex_numIdEiPKS3_PKPS3_S8_S8_EEvT0_S9_T1_lT2_lS9_lT3_lS9_lT4_lS9_S9_l.has_indirect_call, 0
	.section	.AMDGPU.csdata,"",@progbits
; Kernel info:
; codeLenInByte = 516
; TotalNumSgprs: 23
; NumVgprs: 17
; ScratchSize: 0
; MemoryBound: 0
; FloatMode: 240
; IeeeMode: 1
; LDSByteSize: 0 bytes/workgroup (compile time only)
; SGPRBlocks: 0
; VGPRBlocks: 2
; NumSGPRsForWavesPerEU: 23
; NumVGPRsForWavesPerEU: 17
; Occupancy: 16
; WaveLimiterHint : 1
; COMPUTE_PGM_RSRC2:SCRATCH_EN: 0
; COMPUTE_PGM_RSRC2:USER_SGPR: 6
; COMPUTE_PGM_RSRC2:TRAP_HANDLER: 0
; COMPUTE_PGM_RSRC2:TGID_X_EN: 1
; COMPUTE_PGM_RSRC2:TGID_Y_EN: 1
; COMPUTE_PGM_RSRC2:TGID_Z_EN: 1
; COMPUTE_PGM_RSRC2:TIDIG_COMP_CNT: 1
	.section	.text._ZN9rocsolver6v33100L10ger_kernelI19rocblas_complex_numIdEiS3_PKPS3_S6_S6_EEvT0_S7_T1_lT2_lS7_lT3_lS7_lT4_lS7_S7_l,"axG",@progbits,_ZN9rocsolver6v33100L10ger_kernelI19rocblas_complex_numIdEiS3_PKPS3_S6_S6_EEvT0_S7_T1_lT2_lS7_lT3_lS7_lT4_lS7_S7_l,comdat
	.globl	_ZN9rocsolver6v33100L10ger_kernelI19rocblas_complex_numIdEiS3_PKPS3_S6_S6_EEvT0_S7_T1_lT2_lS7_lT3_lS7_lT4_lS7_S7_l ; -- Begin function _ZN9rocsolver6v33100L10ger_kernelI19rocblas_complex_numIdEiS3_PKPS3_S6_S6_EEvT0_S7_T1_lT2_lS7_lT3_lS7_lT4_lS7_S7_l
	.p2align	8
	.type	_ZN9rocsolver6v33100L10ger_kernelI19rocblas_complex_numIdEiS3_PKPS3_S6_S6_EEvT0_S7_T1_lT2_lS7_lT3_lS7_lT4_lS7_S7_l,@function
_ZN9rocsolver6v33100L10ger_kernelI19rocblas_complex_numIdEiS3_PKPS3_S6_S6_EEvT0_S7_T1_lT2_lS7_lT3_lS7_lT4_lS7_S7_l: ; @_ZN9rocsolver6v33100L10ger_kernelI19rocblas_complex_numIdEiS3_PKPS3_S6_S6_EEvT0_S7_T1_lT2_lS7_lT3_lS7_lT4_lS7_S7_l
; %bb.0:
	s_clause 0x1
	s_load_dword s2, s[4:5], 0x8c
	s_load_dwordx2 s[0:1], s[4:5], 0x0
	s_waitcnt lgkmcnt(0)
	s_lshr_b32 s3, s2, 16
	s_and_b32 s2, s2, 0xffff
	v_mad_u64_u32 v[2:3], null, s6, s2, v[0:1]
	v_mad_u64_u32 v[0:1], null, s7, s3, v[1:2]
	v_cmp_gt_i32_e32 vcc_lo, s0, v2
	v_cmp_gt_i32_e64 s0, s1, v0
	s_and_b32 s0, vcc_lo, s0
	s_and_saveexec_b32 s1, s0
	s_cbranch_execz .LBB3_2
; %bb.1:
	s_clause 0x1
	s_load_dwordx4 s[0:3], s[4:5], 0x40
	s_load_dword s12, s[4:5], 0x50
	s_ashr_i32 s9, s8, 31
	s_lshl_b64 s[6:7], s[8:9], 3
	s_waitcnt lgkmcnt(0)
	s_add_u32 s0, s0, s6
	s_addc_u32 s1, s1, s7
	s_lshl_b64 s[2:3], s[2:3], 4
	s_load_dwordx2 s[0:1], s[0:1], 0x0
	s_clause 0x1
	s_load_dwordx4 s[8:11], s[4:5], 0x20
	s_load_dword s13, s[4:5], 0x30
	v_mul_lo_u32 v7, v0, s12
	v_ashrrev_i32_e32 v8, 31, v7
	v_lshlrev_b64 v[7:8], 4, v[7:8]
	s_waitcnt lgkmcnt(0)
	s_add_u32 s14, s0, s2
	s_addc_u32 s15, s1, s3
	s_add_u32 s0, s8, s6
	s_addc_u32 s1, s9, s7
	v_mul_lo_u32 v3, v2, s13
	s_load_dwordx2 s[0:1], s[0:1], 0x0
	s_lshl_b64 s[2:3], s[10:11], 4
	v_ashrrev_i32_e32 v4, 31, v3
	v_lshlrev_b64 v[3:4], 4, v[3:4]
	s_waitcnt lgkmcnt(0)
	s_add_u32 s0, s0, s2
	s_addc_u32 s1, s1, s3
	v_add_co_u32 v3, vcc_lo, s0, v3
	v_add_co_ci_u32_e64 v4, null, s1, v4, vcc_lo
	v_add_co_u32 v7, vcc_lo, s14, v7
	v_add_co_ci_u32_e64 v8, null, s15, v8, vcc_lo
	flat_load_dwordx4 v[3:6], v[3:4]
	s_clause 0x1
	s_load_dwordx2 s[8:9], s[4:5], 0x70
	s_load_dwordx4 s[0:3], s[4:5], 0x60
	flat_load_dwordx4 v[7:10], v[7:8]
	s_waitcnt lgkmcnt(0)
	v_mul_lo_u32 v1, v2, s8
	s_add_u32 s0, s0, s6
	s_addc_u32 s1, s1, s7
	s_lshl_b64 s[2:3], s[2:3], 4
	s_load_dwordx2 s[0:1], s[0:1], 0x0
	v_mad_u64_u32 v[0:1], null, v0, s9, v[1:2]
	v_ashrrev_i32_e32 v1, 31, v0
	v_lshlrev_b64 v[0:1], 4, v[0:1]
	s_waitcnt lgkmcnt(0)
	s_add_u32 s0, s0, s2
	s_addc_u32 s1, s1, s3
	v_add_co_u32 v15, vcc_lo, s0, v0
	v_add_co_ci_u32_e64 v16, null, s1, v1, vcc_lo
	s_load_dwordx4 s[0:3], s[4:5], 0x8
	flat_load_dwordx4 v[11:14], v[15:16]
	s_waitcnt vmcnt(2) lgkmcnt(0)
	v_mul_f64 v[0:1], s[0:1], v[5:6]
	v_mul_f64 v[5:6], s[2:3], v[5:6]
	v_fma_f64 v[0:1], s[2:3], v[3:4], v[0:1]
	v_fma_f64 v[2:3], s[0:1], v[3:4], -v[5:6]
	s_waitcnt vmcnt(1)
	v_mul_f64 v[4:5], v[9:10], v[0:1]
	v_mul_f64 v[0:1], v[7:8], v[0:1]
	v_fma_f64 v[4:5], v[7:8], v[2:3], -v[4:5]
	v_fma_f64 v[2:3], v[9:10], v[2:3], v[0:1]
	s_waitcnt vmcnt(0)
	v_add_f64 v[0:1], v[11:12], v[4:5]
	v_add_f64 v[2:3], v[2:3], v[13:14]
	flat_store_dwordx4 v[15:16], v[0:3]
.LBB3_2:
	s_endpgm
	.section	.rodata,"a",@progbits
	.p2align	6, 0x0
	.amdhsa_kernel _ZN9rocsolver6v33100L10ger_kernelI19rocblas_complex_numIdEiS3_PKPS3_S6_S6_EEvT0_S7_T1_lT2_lS7_lT3_lS7_lT4_lS7_S7_l
		.amdhsa_group_segment_fixed_size 0
		.amdhsa_private_segment_fixed_size 0
		.amdhsa_kernarg_size 384
		.amdhsa_user_sgpr_count 6
		.amdhsa_user_sgpr_private_segment_buffer 1
		.amdhsa_user_sgpr_dispatch_ptr 0
		.amdhsa_user_sgpr_queue_ptr 0
		.amdhsa_user_sgpr_kernarg_segment_ptr 1
		.amdhsa_user_sgpr_dispatch_id 0
		.amdhsa_user_sgpr_flat_scratch_init 0
		.amdhsa_user_sgpr_private_segment_size 0
		.amdhsa_wavefront_size32 1
		.amdhsa_uses_dynamic_stack 0
		.amdhsa_system_sgpr_private_segment_wavefront_offset 0
		.amdhsa_system_sgpr_workgroup_id_x 1
		.amdhsa_system_sgpr_workgroup_id_y 1
		.amdhsa_system_sgpr_workgroup_id_z 1
		.amdhsa_system_sgpr_workgroup_info 0
		.amdhsa_system_vgpr_workitem_id 1
		.amdhsa_next_free_vgpr 17
		.amdhsa_next_free_sgpr 16
		.amdhsa_reserve_vcc 1
		.amdhsa_reserve_flat_scratch 0
		.amdhsa_float_round_mode_32 0
		.amdhsa_float_round_mode_16_64 0
		.amdhsa_float_denorm_mode_32 3
		.amdhsa_float_denorm_mode_16_64 3
		.amdhsa_dx10_clamp 1
		.amdhsa_ieee_mode 1
		.amdhsa_fp16_overflow 0
		.amdhsa_workgroup_processor_mode 1
		.amdhsa_memory_ordered 1
		.amdhsa_forward_progress 1
		.amdhsa_shared_vgpr_count 0
		.amdhsa_exception_fp_ieee_invalid_op 0
		.amdhsa_exception_fp_denorm_src 0
		.amdhsa_exception_fp_ieee_div_zero 0
		.amdhsa_exception_fp_ieee_overflow 0
		.amdhsa_exception_fp_ieee_underflow 0
		.amdhsa_exception_fp_ieee_inexact 0
		.amdhsa_exception_int_div_zero 0
	.end_amdhsa_kernel
	.section	.text._ZN9rocsolver6v33100L10ger_kernelI19rocblas_complex_numIdEiS3_PKPS3_S6_S6_EEvT0_S7_T1_lT2_lS7_lT3_lS7_lT4_lS7_S7_l,"axG",@progbits,_ZN9rocsolver6v33100L10ger_kernelI19rocblas_complex_numIdEiS3_PKPS3_S6_S6_EEvT0_S7_T1_lT2_lS7_lT3_lS7_lT4_lS7_S7_l,comdat
.Lfunc_end3:
	.size	_ZN9rocsolver6v33100L10ger_kernelI19rocblas_complex_numIdEiS3_PKPS3_S6_S6_EEvT0_S7_T1_lT2_lS7_lT3_lS7_lT4_lS7_S7_l, .Lfunc_end3-_ZN9rocsolver6v33100L10ger_kernelI19rocblas_complex_numIdEiS3_PKPS3_S6_S6_EEvT0_S7_T1_lT2_lS7_lT3_lS7_lT4_lS7_S7_l
                                        ; -- End function
	.set _ZN9rocsolver6v33100L10ger_kernelI19rocblas_complex_numIdEiS3_PKPS3_S6_S6_EEvT0_S7_T1_lT2_lS7_lT3_lS7_lT4_lS7_S7_l.num_vgpr, 17
	.set _ZN9rocsolver6v33100L10ger_kernelI19rocblas_complex_numIdEiS3_PKPS3_S6_S6_EEvT0_S7_T1_lT2_lS7_lT3_lS7_lT4_lS7_S7_l.num_agpr, 0
	.set _ZN9rocsolver6v33100L10ger_kernelI19rocblas_complex_numIdEiS3_PKPS3_S6_S6_EEvT0_S7_T1_lT2_lS7_lT3_lS7_lT4_lS7_S7_l.numbered_sgpr, 16
	.set _ZN9rocsolver6v33100L10ger_kernelI19rocblas_complex_numIdEiS3_PKPS3_S6_S6_EEvT0_S7_T1_lT2_lS7_lT3_lS7_lT4_lS7_S7_l.num_named_barrier, 0
	.set _ZN9rocsolver6v33100L10ger_kernelI19rocblas_complex_numIdEiS3_PKPS3_S6_S6_EEvT0_S7_T1_lT2_lS7_lT3_lS7_lT4_lS7_S7_l.private_seg_size, 0
	.set _ZN9rocsolver6v33100L10ger_kernelI19rocblas_complex_numIdEiS3_PKPS3_S6_S6_EEvT0_S7_T1_lT2_lS7_lT3_lS7_lT4_lS7_S7_l.uses_vcc, 1
	.set _ZN9rocsolver6v33100L10ger_kernelI19rocblas_complex_numIdEiS3_PKPS3_S6_S6_EEvT0_S7_T1_lT2_lS7_lT3_lS7_lT4_lS7_S7_l.uses_flat_scratch, 0
	.set _ZN9rocsolver6v33100L10ger_kernelI19rocblas_complex_numIdEiS3_PKPS3_S6_S6_EEvT0_S7_T1_lT2_lS7_lT3_lS7_lT4_lS7_S7_l.has_dyn_sized_stack, 0
	.set _ZN9rocsolver6v33100L10ger_kernelI19rocblas_complex_numIdEiS3_PKPS3_S6_S6_EEvT0_S7_T1_lT2_lS7_lT3_lS7_lT4_lS7_S7_l.has_recursion, 0
	.set _ZN9rocsolver6v33100L10ger_kernelI19rocblas_complex_numIdEiS3_PKPS3_S6_S6_EEvT0_S7_T1_lT2_lS7_lT3_lS7_lT4_lS7_S7_l.has_indirect_call, 0
	.section	.AMDGPU.csdata,"",@progbits
; Kernel info:
; codeLenInByte = 500
; TotalNumSgprs: 18
; NumVgprs: 17
; ScratchSize: 0
; MemoryBound: 0
; FloatMode: 240
; IeeeMode: 1
; LDSByteSize: 0 bytes/workgroup (compile time only)
; SGPRBlocks: 0
; VGPRBlocks: 2
; NumSGPRsForWavesPerEU: 18
; NumVGPRsForWavesPerEU: 17
; Occupancy: 16
; WaveLimiterHint : 1
; COMPUTE_PGM_RSRC2:SCRATCH_EN: 0
; COMPUTE_PGM_RSRC2:USER_SGPR: 6
; COMPUTE_PGM_RSRC2:TRAP_HANDLER: 0
; COMPUTE_PGM_RSRC2:TGID_X_EN: 1
; COMPUTE_PGM_RSRC2:TGID_Y_EN: 1
; COMPUTE_PGM_RSRC2:TGID_Z_EN: 1
; COMPUTE_PGM_RSRC2:TIDIG_COMP_CNT: 1
	.section	.text._ZN9rocsolver6v33100L10ger_kernelI19rocblas_complex_numIdElPKS3_PS3_S6_S6_EEvT0_S7_T1_lT2_lS7_lT3_lS7_lT4_lS7_S7_l,"axG",@progbits,_ZN9rocsolver6v33100L10ger_kernelI19rocblas_complex_numIdElPKS3_PS3_S6_S6_EEvT0_S7_T1_lT2_lS7_lT3_lS7_lT4_lS7_S7_l,comdat
	.globl	_ZN9rocsolver6v33100L10ger_kernelI19rocblas_complex_numIdElPKS3_PS3_S6_S6_EEvT0_S7_T1_lT2_lS7_lT3_lS7_lT4_lS7_S7_l ; -- Begin function _ZN9rocsolver6v33100L10ger_kernelI19rocblas_complex_numIdElPKS3_PS3_S6_S6_EEvT0_S7_T1_lT2_lS7_lT3_lS7_lT4_lS7_S7_l
	.p2align	8
	.type	_ZN9rocsolver6v33100L10ger_kernelI19rocblas_complex_numIdElPKS3_PS3_S6_S6_EEvT0_S7_T1_lT2_lS7_lT3_lS7_lT4_lS7_S7_l,@function
_ZN9rocsolver6v33100L10ger_kernelI19rocblas_complex_numIdElPKS3_PS3_S6_S6_EEvT0_S7_T1_lT2_lS7_lT3_lS7_lT4_lS7_S7_l: ; @_ZN9rocsolver6v33100L10ger_kernelI19rocblas_complex_numIdElPKS3_PS3_S6_S6_EEvT0_S7_T1_lT2_lS7_lT3_lS7_lT4_lS7_S7_l
; %bb.0:
	s_clause 0x1
	s_load_dword s0, s[4:5], 0x94
	s_load_dwordx16 s[12:27], s[4:5], 0x0
	v_mov_b32_e32 v4, 0
	v_mov_b32_e32 v3, v0
	;; [unrolled: 1-line block ×3, first 2 shown]
	s_waitcnt lgkmcnt(0)
	s_lshr_b32 s1, s0, 16
	s_and_b32 s0, s0, 0xffff
	v_mad_u64_u32 v[0:1], null, s1, s7, v[1:2]
	v_mad_u64_u32 v[3:4], null, s0, s6, v[3:4]
	v_cmp_gt_i64_e64 s0, s[14:15], v[0:1]
	v_cmp_gt_i64_e32 vcc_lo, s[12:13], v[3:4]
	s_and_b32 s0, vcc_lo, s0
	s_and_saveexec_b32 s1, s0
	s_cbranch_execz .LBB4_2
; %bb.1:
	s_load_dwordx16 s[36:51], s[4:5], 0x40
	v_mul_lo_u32 v2, v4, s24
	v_mul_lo_u32 v7, v3, s25
	v_mad_u64_u32 v[5:6], null, v3, s24, 0
	s_mul_i32 s3, s27, s8
	s_mul_hi_u32 s6, s26, s8
	v_add3_u32 v6, v6, v7, v2
	v_lshlrev_b64 v[5:6], 4, v[5:6]
	s_waitcnt lgkmcnt(0)
	s_mul_i32 s1, s43, s8
	s_mul_hi_u32 s2, s42, s8
	s_mul_i32 s0, s42, s8
	s_add_i32 s1, s2, s1
	s_mul_i32 s2, s26, s8
	s_lshl_b64 s[0:1], s[0:1], 4
	v_mul_lo_u32 v2, v1, s40
	s_add_u32 s7, s36, s0
	s_addc_u32 s9, s37, s1
	s_lshl_b64 s[0:1], s[38:39], 4
	v_mul_lo_u32 v11, v0, s41
	s_add_u32 s7, s7, s0
	s_addc_u32 s9, s9, s1
	s_add_i32 s3, s6, s3
	v_mad_u64_u32 v[9:10], null, v0, s40, 0
	s_lshl_b64 s[0:1], s[2:3], 4
	v_mul_lo_u32 v4, v4, s48
	s_add_u32 s2, s20, s0
	s_addc_u32 s3, s21, s1
	s_lshl_b64 s[0:1], s[22:23], 4
	v_mul_lo_u32 v13, v3, s49
	s_add_u32 s0, s2, s0
	s_addc_u32 s1, s3, s1
	v_add_co_u32 v5, vcc_lo, s0, v5
	v_add_co_ci_u32_e64 v6, null, s1, v6, vcc_lo
	v_add3_u32 v10, v10, v11, v2
	s_load_dwordx2 s[0:1], s[4:5], 0x80
	v_mad_u64_u32 v[2:3], null, v3, s48, 0
	global_load_dwordx4 v[5:8], v[5:6], off
	v_lshlrev_b64 v[9:10], 4, v[9:10]
	v_mul_lo_u32 v14, v1, s50
	v_mul_lo_u32 v15, v0, s51
	v_mad_u64_u32 v[0:1], null, v0, s50, 0
	v_add3_u32 v3, v3, v13, v4
	v_add_co_u32 v9, vcc_lo, s7, v9
	v_add_co_ci_u32_e64 v10, null, s9, v10, vcc_lo
	v_lshlrev_b64 v[2:3], 4, v[2:3]
	v_add3_u32 v1, v1, v15, v14
	global_load_dwordx4 v[9:12], v[9:10], off
	s_waitcnt lgkmcnt(0)
	s_mul_i32 s1, s1, s8
	s_mul_hi_u32 s2, s0, s8
	s_mul_i32 s0, s0, s8
	s_add_i32 s1, s2, s1
	v_lshlrev_b64 v[0:1], 4, v[0:1]
	s_lshl_b64 s[0:1], s[0:1], 4
	s_add_u32 s2, s44, s0
	s_addc_u32 s3, s45, s1
	s_lshl_b64 s[0:1], s[46:47], 4
	s_add_u32 s0, s2, s0
	s_addc_u32 s1, s3, s1
	v_add_co_u32 v2, vcc_lo, s0, v2
	v_add_co_ci_u32_e64 v3, null, s1, v3, vcc_lo
	s_mul_i32 s0, s8, s18
	v_add_co_u32 v13, vcc_lo, v2, v0
	v_add_co_ci_u32_e64 v14, null, v3, v1, vcc_lo
	s_ashr_i32 s1, s0, 31
	s_lshl_b64 s[0:1], s[0:1], 4
	global_load_dwordx4 v[0:3], v[13:14], off
	s_add_u32 s0, s16, s0
	s_addc_u32 s1, s17, s1
	s_load_dwordx4 s[0:3], s[0:1], 0x0
	s_waitcnt vmcnt(2) lgkmcnt(0)
	v_mul_f64 v[15:16], s[0:1], v[7:8]
	v_mul_f64 v[7:8], s[2:3], v[7:8]
	v_fma_f64 v[15:16], s[2:3], v[5:6], v[15:16]
	v_fma_f64 v[4:5], s[0:1], v[5:6], -v[7:8]
	s_waitcnt vmcnt(1)
	v_mul_f64 v[6:7], v[11:12], v[15:16]
	v_mul_f64 v[15:16], v[9:10], v[15:16]
	v_fma_f64 v[6:7], v[9:10], v[4:5], -v[6:7]
	v_fma_f64 v[4:5], v[11:12], v[4:5], v[15:16]
	s_waitcnt vmcnt(0)
	v_add_f64 v[0:1], v[0:1], v[6:7]
	v_add_f64 v[2:3], v[4:5], v[2:3]
	global_store_dwordx4 v[13:14], v[0:3], off
.LBB4_2:
	s_endpgm
	.section	.rodata,"a",@progbits
	.p2align	6, 0x0
	.amdhsa_kernel _ZN9rocsolver6v33100L10ger_kernelI19rocblas_complex_numIdElPKS3_PS3_S6_S6_EEvT0_S7_T1_lT2_lS7_lT3_lS7_lT4_lS7_S7_l
		.amdhsa_group_segment_fixed_size 0
		.amdhsa_private_segment_fixed_size 0
		.amdhsa_kernarg_size 392
		.amdhsa_user_sgpr_count 6
		.amdhsa_user_sgpr_private_segment_buffer 1
		.amdhsa_user_sgpr_dispatch_ptr 0
		.amdhsa_user_sgpr_queue_ptr 0
		.amdhsa_user_sgpr_kernarg_segment_ptr 1
		.amdhsa_user_sgpr_dispatch_id 0
		.amdhsa_user_sgpr_flat_scratch_init 0
		.amdhsa_user_sgpr_private_segment_size 0
		.amdhsa_wavefront_size32 1
		.amdhsa_uses_dynamic_stack 0
		.amdhsa_system_sgpr_private_segment_wavefront_offset 0
		.amdhsa_system_sgpr_workgroup_id_x 1
		.amdhsa_system_sgpr_workgroup_id_y 1
		.amdhsa_system_sgpr_workgroup_id_z 1
		.amdhsa_system_sgpr_workgroup_info 0
		.amdhsa_system_vgpr_workitem_id 1
		.amdhsa_next_free_vgpr 17
		.amdhsa_next_free_sgpr 52
		.amdhsa_reserve_vcc 1
		.amdhsa_reserve_flat_scratch 0
		.amdhsa_float_round_mode_32 0
		.amdhsa_float_round_mode_16_64 0
		.amdhsa_float_denorm_mode_32 3
		.amdhsa_float_denorm_mode_16_64 3
		.amdhsa_dx10_clamp 1
		.amdhsa_ieee_mode 1
		.amdhsa_fp16_overflow 0
		.amdhsa_workgroup_processor_mode 1
		.amdhsa_memory_ordered 1
		.amdhsa_forward_progress 1
		.amdhsa_shared_vgpr_count 0
		.amdhsa_exception_fp_ieee_invalid_op 0
		.amdhsa_exception_fp_denorm_src 0
		.amdhsa_exception_fp_ieee_div_zero 0
		.amdhsa_exception_fp_ieee_overflow 0
		.amdhsa_exception_fp_ieee_underflow 0
		.amdhsa_exception_fp_ieee_inexact 0
		.amdhsa_exception_int_div_zero 0
	.end_amdhsa_kernel
	.section	.text._ZN9rocsolver6v33100L10ger_kernelI19rocblas_complex_numIdElPKS3_PS3_S6_S6_EEvT0_S7_T1_lT2_lS7_lT3_lS7_lT4_lS7_S7_l,"axG",@progbits,_ZN9rocsolver6v33100L10ger_kernelI19rocblas_complex_numIdElPKS3_PS3_S6_S6_EEvT0_S7_T1_lT2_lS7_lT3_lS7_lT4_lS7_S7_l,comdat
.Lfunc_end4:
	.size	_ZN9rocsolver6v33100L10ger_kernelI19rocblas_complex_numIdElPKS3_PS3_S6_S6_EEvT0_S7_T1_lT2_lS7_lT3_lS7_lT4_lS7_S7_l, .Lfunc_end4-_ZN9rocsolver6v33100L10ger_kernelI19rocblas_complex_numIdElPKS3_PS3_S6_S6_EEvT0_S7_T1_lT2_lS7_lT3_lS7_lT4_lS7_S7_l
                                        ; -- End function
	.set _ZN9rocsolver6v33100L10ger_kernelI19rocblas_complex_numIdElPKS3_PS3_S6_S6_EEvT0_S7_T1_lT2_lS7_lT3_lS7_lT4_lS7_S7_l.num_vgpr, 17
	.set _ZN9rocsolver6v33100L10ger_kernelI19rocblas_complex_numIdElPKS3_PS3_S6_S6_EEvT0_S7_T1_lT2_lS7_lT3_lS7_lT4_lS7_S7_l.num_agpr, 0
	.set _ZN9rocsolver6v33100L10ger_kernelI19rocblas_complex_numIdElPKS3_PS3_S6_S6_EEvT0_S7_T1_lT2_lS7_lT3_lS7_lT4_lS7_S7_l.numbered_sgpr, 52
	.set _ZN9rocsolver6v33100L10ger_kernelI19rocblas_complex_numIdElPKS3_PS3_S6_S6_EEvT0_S7_T1_lT2_lS7_lT3_lS7_lT4_lS7_S7_l.num_named_barrier, 0
	.set _ZN9rocsolver6v33100L10ger_kernelI19rocblas_complex_numIdElPKS3_PS3_S6_S6_EEvT0_S7_T1_lT2_lS7_lT3_lS7_lT4_lS7_S7_l.private_seg_size, 0
	.set _ZN9rocsolver6v33100L10ger_kernelI19rocblas_complex_numIdElPKS3_PS3_S6_S6_EEvT0_S7_T1_lT2_lS7_lT3_lS7_lT4_lS7_S7_l.uses_vcc, 1
	.set _ZN9rocsolver6v33100L10ger_kernelI19rocblas_complex_numIdElPKS3_PS3_S6_S6_EEvT0_S7_T1_lT2_lS7_lT3_lS7_lT4_lS7_S7_l.uses_flat_scratch, 0
	.set _ZN9rocsolver6v33100L10ger_kernelI19rocblas_complex_numIdElPKS3_PS3_S6_S6_EEvT0_S7_T1_lT2_lS7_lT3_lS7_lT4_lS7_S7_l.has_dyn_sized_stack, 0
	.set _ZN9rocsolver6v33100L10ger_kernelI19rocblas_complex_numIdElPKS3_PS3_S6_S6_EEvT0_S7_T1_lT2_lS7_lT3_lS7_lT4_lS7_S7_l.has_recursion, 0
	.set _ZN9rocsolver6v33100L10ger_kernelI19rocblas_complex_numIdElPKS3_PS3_S6_S6_EEvT0_S7_T1_lT2_lS7_lT3_lS7_lT4_lS7_S7_l.has_indirect_call, 0
	.section	.AMDGPU.csdata,"",@progbits
; Kernel info:
; codeLenInByte = 612
; TotalNumSgprs: 54
; NumVgprs: 17
; ScratchSize: 0
; MemoryBound: 0
; FloatMode: 240
; IeeeMode: 1
; LDSByteSize: 0 bytes/workgroup (compile time only)
; SGPRBlocks: 0
; VGPRBlocks: 2
; NumSGPRsForWavesPerEU: 54
; NumVGPRsForWavesPerEU: 17
; Occupancy: 16
; WaveLimiterHint : 0
; COMPUTE_PGM_RSRC2:SCRATCH_EN: 0
; COMPUTE_PGM_RSRC2:USER_SGPR: 6
; COMPUTE_PGM_RSRC2:TRAP_HANDLER: 0
; COMPUTE_PGM_RSRC2:TGID_X_EN: 1
; COMPUTE_PGM_RSRC2:TGID_Y_EN: 1
; COMPUTE_PGM_RSRC2:TGID_Z_EN: 1
; COMPUTE_PGM_RSRC2:TIDIG_COMP_CNT: 1
	.section	.text._ZN9rocsolver6v33100L10ger_kernelI19rocblas_complex_numIdElS3_PS3_S4_S4_EEvT0_S5_T1_lT2_lS5_lT3_lS5_lT4_lS5_S5_l,"axG",@progbits,_ZN9rocsolver6v33100L10ger_kernelI19rocblas_complex_numIdElS3_PS3_S4_S4_EEvT0_S5_T1_lT2_lS5_lT3_lS5_lT4_lS5_S5_l,comdat
	.globl	_ZN9rocsolver6v33100L10ger_kernelI19rocblas_complex_numIdElS3_PS3_S4_S4_EEvT0_S5_T1_lT2_lS5_lT3_lS5_lT4_lS5_S5_l ; -- Begin function _ZN9rocsolver6v33100L10ger_kernelI19rocblas_complex_numIdElS3_PS3_S4_S4_EEvT0_S5_T1_lT2_lS5_lT3_lS5_lT4_lS5_S5_l
	.p2align	8
	.type	_ZN9rocsolver6v33100L10ger_kernelI19rocblas_complex_numIdElS3_PS3_S4_S4_EEvT0_S5_T1_lT2_lS5_lT3_lS5_lT4_lS5_S5_l,@function
_ZN9rocsolver6v33100L10ger_kernelI19rocblas_complex_numIdElS3_PS3_S4_S4_EEvT0_S5_T1_lT2_lS5_lT3_lS5_lT4_lS5_S5_l: ; @_ZN9rocsolver6v33100L10ger_kernelI19rocblas_complex_numIdElS3_PS3_S4_S4_EEvT0_S5_T1_lT2_lS5_lT3_lS5_lT4_lS5_S5_l
; %bb.0:
	s_clause 0x1
	s_load_dword s9, s[4:5], 0x9c
	s_load_dwordx4 s[0:3], s[4:5], 0x0
	v_mov_b32_e32 v4, 0
	v_mov_b32_e32 v3, v0
	;; [unrolled: 1-line block ×3, first 2 shown]
	s_waitcnt lgkmcnt(0)
	s_lshr_b32 s10, s9, 16
	s_and_b32 s9, s9, 0xffff
	v_mad_u64_u32 v[0:1], null, s10, s7, v[1:2]
	v_mad_u64_u32 v[3:4], null, s9, s6, v[3:4]
	v_cmp_gt_i64_e32 vcc_lo, s[0:1], v[3:4]
	v_cmp_gt_i64_e64 s0, s[2:3], v[0:1]
	s_and_b32 s0, vcc_lo, s0
	s_and_saveexec_b32 s1, s0
	s_cbranch_execz .LBB5_2
; %bb.1:
	s_load_dwordx16 s[12:27], s[4:5], 0x28
	s_waitcnt lgkmcnt(0)
	s_mul_i32 s1, s27, s8
	s_mul_hi_u32 s2, s26, s8
	v_mul_lo_u32 v2, v4, s16
	v_mul_lo_u32 v7, v3, s17
	v_mad_u64_u32 v[5:6], null, v3, s16, 0
	s_mul_i32 s0, s26, s8
	s_add_i32 s1, s2, s1
	s_mul_i32 s3, s19, s8
	s_lshl_b64 s[0:1], s[0:1], 4
	s_mul_hi_u32 s6, s18, s8
	s_add_u32 s7, s20, s0
	s_addc_u32 s9, s21, s1
	s_lshl_b64 s[0:1], s[22:23], 4
	v_add3_u32 v6, v6, v7, v2
	s_add_u32 s7, s7, s0
	s_mul_i32 s2, s18, s8
	s_addc_u32 s9, s9, s1
	s_add_i32 s3, s6, s3
	v_lshlrev_b64 v[5:6], 4, v[5:6]
	s_lshl_b64 s[0:1], s[2:3], 4
	v_mul_lo_u32 v2, v1, s24
	s_add_u32 s2, s12, s0
	s_addc_u32 s3, s13, s1
	s_lshl_b64 s[0:1], s[14:15], 4
	v_mul_lo_u32 v11, v0, s25
	s_add_u32 s0, s2, s0
	s_addc_u32 s1, s3, s1
	v_add_co_u32 v5, vcc_lo, s0, v5
	v_add_co_ci_u32_e64 v6, null, s1, v6, vcc_lo
	v_mad_u64_u32 v[9:10], null, v0, s24, 0
	s_load_dwordx8 s[12:19], s[4:5], 0x68
	global_load_dwordx4 v[5:8], v[5:6], off
	s_load_dwordx2 s[0:1], s[4:5], 0x88
	v_add3_u32 v10, v10, v11, v2
	v_lshlrev_b64 v[9:10], 4, v[9:10]
	v_add_co_u32 v9, vcc_lo, s7, v9
	v_add_co_ci_u32_e64 v10, null, s9, v10, vcc_lo
	s_waitcnt lgkmcnt(0)
	v_mul_lo_u32 v4, v4, s16
	v_mul_lo_u32 v13, v3, s17
	v_mad_u64_u32 v[2:3], null, v3, s16, 0
	global_load_dwordx4 v[9:12], v[9:10], off
	v_mul_lo_u32 v14, v1, s18
	v_mul_lo_u32 v15, v0, s19
	v_mad_u64_u32 v[0:1], null, v0, s18, 0
	s_mul_i32 s1, s1, s8
	s_mul_hi_u32 s2, s0, s8
	v_add3_u32 v3, v3, v13, v4
	s_mul_i32 s0, s0, s8
	s_add_i32 s1, s2, s1
	s_lshl_b64 s[0:1], s[0:1], 4
	v_add3_u32 v1, v1, v15, v14
	v_lshlrev_b64 v[2:3], 4, v[2:3]
	s_add_u32 s2, s12, s0
	s_addc_u32 s3, s13, s1
	s_lshl_b64 s[0:1], s[14:15], 4
	v_lshlrev_b64 v[0:1], 4, v[0:1]
	s_add_u32 s0, s2, s0
	s_addc_u32 s1, s3, s1
	v_add_co_u32 v2, vcc_lo, s0, v2
	v_add_co_ci_u32_e64 v3, null, s1, v3, vcc_lo
	s_load_dwordx4 s[0:3], s[4:5], 0x10
	v_add_co_u32 v13, vcc_lo, v2, v0
	v_add_co_ci_u32_e64 v14, null, v3, v1, vcc_lo
	global_load_dwordx4 v[0:3], v[13:14], off
	s_waitcnt vmcnt(2) lgkmcnt(0)
	v_mul_f64 v[15:16], s[0:1], v[7:8]
	v_mul_f64 v[7:8], s[2:3], v[7:8]
	v_fma_f64 v[15:16], s[2:3], v[5:6], v[15:16]
	v_fma_f64 v[4:5], s[0:1], v[5:6], -v[7:8]
	s_waitcnt vmcnt(1)
	v_mul_f64 v[6:7], v[11:12], v[15:16]
	v_mul_f64 v[15:16], v[9:10], v[15:16]
	v_fma_f64 v[6:7], v[9:10], v[4:5], -v[6:7]
	v_fma_f64 v[4:5], v[11:12], v[4:5], v[15:16]
	s_waitcnt vmcnt(0)
	v_add_f64 v[0:1], v[0:1], v[6:7]
	v_add_f64 v[2:3], v[4:5], v[2:3]
	global_store_dwordx4 v[13:14], v[0:3], off
.LBB5_2:
	s_endpgm
	.section	.rodata,"a",@progbits
	.p2align	6, 0x0
	.amdhsa_kernel _ZN9rocsolver6v33100L10ger_kernelI19rocblas_complex_numIdElS3_PS3_S4_S4_EEvT0_S5_T1_lT2_lS5_lT3_lS5_lT4_lS5_S5_l
		.amdhsa_group_segment_fixed_size 0
		.amdhsa_private_segment_fixed_size 0
		.amdhsa_kernarg_size 400
		.amdhsa_user_sgpr_count 6
		.amdhsa_user_sgpr_private_segment_buffer 1
		.amdhsa_user_sgpr_dispatch_ptr 0
		.amdhsa_user_sgpr_queue_ptr 0
		.amdhsa_user_sgpr_kernarg_segment_ptr 1
		.amdhsa_user_sgpr_dispatch_id 0
		.amdhsa_user_sgpr_flat_scratch_init 0
		.amdhsa_user_sgpr_private_segment_size 0
		.amdhsa_wavefront_size32 1
		.amdhsa_uses_dynamic_stack 0
		.amdhsa_system_sgpr_private_segment_wavefront_offset 0
		.amdhsa_system_sgpr_workgroup_id_x 1
		.amdhsa_system_sgpr_workgroup_id_y 1
		.amdhsa_system_sgpr_workgroup_id_z 1
		.amdhsa_system_sgpr_workgroup_info 0
		.amdhsa_system_vgpr_workitem_id 1
		.amdhsa_next_free_vgpr 17
		.amdhsa_next_free_sgpr 28
		.amdhsa_reserve_vcc 1
		.amdhsa_reserve_flat_scratch 0
		.amdhsa_float_round_mode_32 0
		.amdhsa_float_round_mode_16_64 0
		.amdhsa_float_denorm_mode_32 3
		.amdhsa_float_denorm_mode_16_64 3
		.amdhsa_dx10_clamp 1
		.amdhsa_ieee_mode 1
		.amdhsa_fp16_overflow 0
		.amdhsa_workgroup_processor_mode 1
		.amdhsa_memory_ordered 1
		.amdhsa_forward_progress 1
		.amdhsa_shared_vgpr_count 0
		.amdhsa_exception_fp_ieee_invalid_op 0
		.amdhsa_exception_fp_denorm_src 0
		.amdhsa_exception_fp_ieee_div_zero 0
		.amdhsa_exception_fp_ieee_overflow 0
		.amdhsa_exception_fp_ieee_underflow 0
		.amdhsa_exception_fp_ieee_inexact 0
		.amdhsa_exception_int_div_zero 0
	.end_amdhsa_kernel
	.section	.text._ZN9rocsolver6v33100L10ger_kernelI19rocblas_complex_numIdElS3_PS3_S4_S4_EEvT0_S5_T1_lT2_lS5_lT3_lS5_lT4_lS5_S5_l,"axG",@progbits,_ZN9rocsolver6v33100L10ger_kernelI19rocblas_complex_numIdElS3_PS3_S4_S4_EEvT0_S5_T1_lT2_lS5_lT3_lS5_lT4_lS5_S5_l,comdat
.Lfunc_end5:
	.size	_ZN9rocsolver6v33100L10ger_kernelI19rocblas_complex_numIdElS3_PS3_S4_S4_EEvT0_S5_T1_lT2_lS5_lT3_lS5_lT4_lS5_S5_l, .Lfunc_end5-_ZN9rocsolver6v33100L10ger_kernelI19rocblas_complex_numIdElS3_PS3_S4_S4_EEvT0_S5_T1_lT2_lS5_lT3_lS5_lT4_lS5_S5_l
                                        ; -- End function
	.set _ZN9rocsolver6v33100L10ger_kernelI19rocblas_complex_numIdElS3_PS3_S4_S4_EEvT0_S5_T1_lT2_lS5_lT3_lS5_lT4_lS5_S5_l.num_vgpr, 17
	.set _ZN9rocsolver6v33100L10ger_kernelI19rocblas_complex_numIdElS3_PS3_S4_S4_EEvT0_S5_T1_lT2_lS5_lT3_lS5_lT4_lS5_S5_l.num_agpr, 0
	.set _ZN9rocsolver6v33100L10ger_kernelI19rocblas_complex_numIdElS3_PS3_S4_S4_EEvT0_S5_T1_lT2_lS5_lT3_lS5_lT4_lS5_S5_l.numbered_sgpr, 28
	.set _ZN9rocsolver6v33100L10ger_kernelI19rocblas_complex_numIdElS3_PS3_S4_S4_EEvT0_S5_T1_lT2_lS5_lT3_lS5_lT4_lS5_S5_l.num_named_barrier, 0
	.set _ZN9rocsolver6v33100L10ger_kernelI19rocblas_complex_numIdElS3_PS3_S4_S4_EEvT0_S5_T1_lT2_lS5_lT3_lS5_lT4_lS5_S5_l.private_seg_size, 0
	.set _ZN9rocsolver6v33100L10ger_kernelI19rocblas_complex_numIdElS3_PS3_S4_S4_EEvT0_S5_T1_lT2_lS5_lT3_lS5_lT4_lS5_S5_l.uses_vcc, 1
	.set _ZN9rocsolver6v33100L10ger_kernelI19rocblas_complex_numIdElS3_PS3_S4_S4_EEvT0_S5_T1_lT2_lS5_lT3_lS5_lT4_lS5_S5_l.uses_flat_scratch, 0
	.set _ZN9rocsolver6v33100L10ger_kernelI19rocblas_complex_numIdElS3_PS3_S4_S4_EEvT0_S5_T1_lT2_lS5_lT3_lS5_lT4_lS5_S5_l.has_dyn_sized_stack, 0
	.set _ZN9rocsolver6v33100L10ger_kernelI19rocblas_complex_numIdElS3_PS3_S4_S4_EEvT0_S5_T1_lT2_lS5_lT3_lS5_lT4_lS5_S5_l.has_recursion, 0
	.set _ZN9rocsolver6v33100L10ger_kernelI19rocblas_complex_numIdElS3_PS3_S4_S4_EEvT0_S5_T1_lT2_lS5_lT3_lS5_lT4_lS5_S5_l.has_indirect_call, 0
	.section	.AMDGPU.csdata,"",@progbits
; Kernel info:
; codeLenInByte = 600
; TotalNumSgprs: 30
; NumVgprs: 17
; ScratchSize: 0
; MemoryBound: 0
; FloatMode: 240
; IeeeMode: 1
; LDSByteSize: 0 bytes/workgroup (compile time only)
; SGPRBlocks: 0
; VGPRBlocks: 2
; NumSGPRsForWavesPerEU: 30
; NumVGPRsForWavesPerEU: 17
; Occupancy: 16
; WaveLimiterHint : 1
; COMPUTE_PGM_RSRC2:SCRATCH_EN: 0
; COMPUTE_PGM_RSRC2:USER_SGPR: 6
; COMPUTE_PGM_RSRC2:TRAP_HANDLER: 0
; COMPUTE_PGM_RSRC2:TGID_X_EN: 1
; COMPUTE_PGM_RSRC2:TGID_Y_EN: 1
; COMPUTE_PGM_RSRC2:TGID_Z_EN: 1
; COMPUTE_PGM_RSRC2:TIDIG_COMP_CNT: 1
	.section	.text._ZN9rocsolver6v33100L10ger_kernelI19rocblas_complex_numIdElPKS3_PKPS3_S8_S8_EEvT0_S9_T1_lT2_lS9_lT3_lS9_lT4_lS9_S9_l,"axG",@progbits,_ZN9rocsolver6v33100L10ger_kernelI19rocblas_complex_numIdElPKS3_PKPS3_S8_S8_EEvT0_S9_T1_lT2_lS9_lT3_lS9_lT4_lS9_S9_l,comdat
	.globl	_ZN9rocsolver6v33100L10ger_kernelI19rocblas_complex_numIdElPKS3_PKPS3_S8_S8_EEvT0_S9_T1_lT2_lS9_lT3_lS9_lT4_lS9_S9_l ; -- Begin function _ZN9rocsolver6v33100L10ger_kernelI19rocblas_complex_numIdElPKS3_PKPS3_S8_S8_EEvT0_S9_T1_lT2_lS9_lT3_lS9_lT4_lS9_S9_l
	.p2align	8
	.type	_ZN9rocsolver6v33100L10ger_kernelI19rocblas_complex_numIdElPKS3_PKPS3_S8_S8_EEvT0_S9_T1_lT2_lS9_lT3_lS9_lT4_lS9_S9_l,@function
_ZN9rocsolver6v33100L10ger_kernelI19rocblas_complex_numIdElPKS3_PKPS3_S8_S8_EEvT0_S9_T1_lT2_lS9_lT3_lS9_lT4_lS9_S9_l: ; @_ZN9rocsolver6v33100L10ger_kernelI19rocblas_complex_numIdElPKS3_PKPS3_S8_S8_EEvT0_S9_T1_lT2_lS9_lT3_lS9_lT4_lS9_S9_l
; %bb.0:
	s_clause 0x1
	s_load_dword s0, s[4:5], 0x94
	s_load_dwordx8 s[12:19], s[4:5], 0x0
	v_mov_b32_e32 v4, 0
	v_mov_b32_e32 v3, v0
	;; [unrolled: 1-line block ×3, first 2 shown]
	s_waitcnt lgkmcnt(0)
	s_lshr_b32 s1, s0, 16
	s_and_b32 s0, s0, 0xffff
	v_mad_u64_u32 v[0:1], null, s1, s7, v[1:2]
	v_mad_u64_u32 v[3:4], null, s0, s6, v[3:4]
	v_cmp_gt_i64_e64 s0, s[14:15], v[0:1]
	v_cmp_gt_i64_e32 vcc_lo, s[12:13], v[3:4]
	s_and_b32 s0, vcc_lo, s0
	s_and_saveexec_b32 s1, s0
	s_cbranch_execz .LBB6_2
; %bb.1:
	s_clause 0x1
	s_load_dwordx4 s[0:3], s[4:5], 0x40
	s_load_dwordx2 s[6:7], s[4:5], 0x50
	s_mov_b32 s9, 0
	s_lshl_b64 s[10:11], s[8:9], 3
	s_waitcnt lgkmcnt(0)
	s_add_u32 s0, s0, s10
	s_addc_u32 s1, s1, s11
	s_lshl_b64 s[2:3], s[2:3], 4
	s_load_dwordx2 s[0:1], s[0:1], 0x0
	s_load_dwordx8 s[20:27], s[4:5], 0x20
	v_mul_lo_u32 v11, v0, s7
	v_mad_u64_u32 v[9:10], null, v0, s6, 0
	s_waitcnt lgkmcnt(0)
	s_add_u32 s9, s0, s2
	s_addc_u32 s12, s1, s3
	s_add_u32 s0, s20, s10
	s_addc_u32 s1, s21, s11
	v_mul_lo_u32 v2, v4, s24
	s_load_dwordx2 s[0:1], s[0:1], 0x0
	v_mul_lo_u32 v7, v3, s25
	v_mad_u64_u32 v[5:6], null, v3, s24, 0
	s_lshl_b64 s[2:3], s[22:23], 4
	v_add3_u32 v6, v6, v7, v2
	v_mul_lo_u32 v2, v1, s6
	v_lshlrev_b64 v[5:6], 4, v[5:6]
	v_add3_u32 v10, v10, v11, v2
	s_waitcnt lgkmcnt(0)
	s_add_u32 s0, s0, s2
	s_addc_u32 s1, s1, s3
	v_add_co_u32 v5, vcc_lo, s0, v5
	v_add_co_ci_u32_e64 v6, null, s1, v6, vcc_lo
	s_load_dwordx8 s[0:7], s[4:5], 0x60
	v_lshlrev_b64 v[9:10], 4, v[9:10]
	flat_load_dwordx4 v[5:8], v[5:6]
	v_add_co_u32 v9, vcc_lo, s9, v9
	v_add_co_ci_u32_e64 v10, null, s12, v10, vcc_lo
	flat_load_dwordx4 v[9:12], v[9:10]
	s_waitcnt lgkmcnt(0)
	s_add_u32 s0, s0, s10
	s_addc_u32 s1, s1, s11
	v_mul_lo_u32 v4, v4, s4
	s_load_dwordx2 s[0:1], s[0:1], 0x0
	v_mul_lo_u32 v13, v3, s5
	v_mad_u64_u32 v[2:3], null, v3, s4, 0
	v_mul_lo_u32 v14, v1, s6
	v_mul_lo_u32 v15, v0, s7
	v_mad_u64_u32 v[0:1], null, v0, s6, 0
	s_lshl_b64 s[2:3], s[2:3], 4
	v_add3_u32 v3, v3, v13, v4
	v_add3_u32 v1, v1, v15, v14
	v_lshlrev_b64 v[2:3], 4, v[2:3]
	v_lshlrev_b64 v[0:1], 4, v[0:1]
	s_waitcnt lgkmcnt(0)
	s_add_u32 s0, s0, s2
	s_addc_u32 s1, s1, s3
	v_add_co_u32 v2, vcc_lo, s0, v2
	v_add_co_ci_u32_e64 v3, null, s1, v3, vcc_lo
	s_mul_i32 s0, s8, s18
	v_add_co_u32 v13, vcc_lo, v2, v0
	v_add_co_ci_u32_e64 v14, null, v3, v1, vcc_lo
	s_ashr_i32 s1, s0, 31
	s_lshl_b64 s[0:1], s[0:1], 4
	flat_load_dwordx4 v[0:3], v[13:14]
	s_add_u32 s0, s16, s0
	s_addc_u32 s1, s17, s1
	s_load_dwordx4 s[0:3], s[0:1], 0x0
	s_waitcnt vmcnt(2) lgkmcnt(0)
	v_mul_f64 v[15:16], s[0:1], v[7:8]
	v_mul_f64 v[7:8], s[2:3], v[7:8]
	v_fma_f64 v[15:16], s[2:3], v[5:6], v[15:16]
	v_fma_f64 v[4:5], s[0:1], v[5:6], -v[7:8]
	s_waitcnt vmcnt(1)
	v_mul_f64 v[6:7], v[11:12], v[15:16]
	v_mul_f64 v[15:16], v[9:10], v[15:16]
	v_fma_f64 v[6:7], v[9:10], v[4:5], -v[6:7]
	v_fma_f64 v[4:5], v[11:12], v[4:5], v[15:16]
	s_waitcnt vmcnt(0)
	v_add_f64 v[0:1], v[0:1], v[6:7]
	v_add_f64 v[2:3], v[4:5], v[2:3]
	flat_store_dwordx4 v[13:14], v[0:3]
.LBB6_2:
	s_endpgm
	.section	.rodata,"a",@progbits
	.p2align	6, 0x0
	.amdhsa_kernel _ZN9rocsolver6v33100L10ger_kernelI19rocblas_complex_numIdElPKS3_PKPS3_S8_S8_EEvT0_S9_T1_lT2_lS9_lT3_lS9_lT4_lS9_S9_l
		.amdhsa_group_segment_fixed_size 0
		.amdhsa_private_segment_fixed_size 0
		.amdhsa_kernarg_size 392
		.amdhsa_user_sgpr_count 6
		.amdhsa_user_sgpr_private_segment_buffer 1
		.amdhsa_user_sgpr_dispatch_ptr 0
		.amdhsa_user_sgpr_queue_ptr 0
		.amdhsa_user_sgpr_kernarg_segment_ptr 1
		.amdhsa_user_sgpr_dispatch_id 0
		.amdhsa_user_sgpr_flat_scratch_init 0
		.amdhsa_user_sgpr_private_segment_size 0
		.amdhsa_wavefront_size32 1
		.amdhsa_uses_dynamic_stack 0
		.amdhsa_system_sgpr_private_segment_wavefront_offset 0
		.amdhsa_system_sgpr_workgroup_id_x 1
		.amdhsa_system_sgpr_workgroup_id_y 1
		.amdhsa_system_sgpr_workgroup_id_z 1
		.amdhsa_system_sgpr_workgroup_info 0
		.amdhsa_system_vgpr_workitem_id 1
		.amdhsa_next_free_vgpr 17
		.amdhsa_next_free_sgpr 28
		.amdhsa_reserve_vcc 1
		.amdhsa_reserve_flat_scratch 0
		.amdhsa_float_round_mode_32 0
		.amdhsa_float_round_mode_16_64 0
		.amdhsa_float_denorm_mode_32 3
		.amdhsa_float_denorm_mode_16_64 3
		.amdhsa_dx10_clamp 1
		.amdhsa_ieee_mode 1
		.amdhsa_fp16_overflow 0
		.amdhsa_workgroup_processor_mode 1
		.amdhsa_memory_ordered 1
		.amdhsa_forward_progress 1
		.amdhsa_shared_vgpr_count 0
		.amdhsa_exception_fp_ieee_invalid_op 0
		.amdhsa_exception_fp_denorm_src 0
		.amdhsa_exception_fp_ieee_div_zero 0
		.amdhsa_exception_fp_ieee_overflow 0
		.amdhsa_exception_fp_ieee_underflow 0
		.amdhsa_exception_fp_ieee_inexact 0
		.amdhsa_exception_int_div_zero 0
	.end_amdhsa_kernel
	.section	.text._ZN9rocsolver6v33100L10ger_kernelI19rocblas_complex_numIdElPKS3_PKPS3_S8_S8_EEvT0_S9_T1_lT2_lS9_lT3_lS9_lT4_lS9_S9_l,"axG",@progbits,_ZN9rocsolver6v33100L10ger_kernelI19rocblas_complex_numIdElPKS3_PKPS3_S8_S8_EEvT0_S9_T1_lT2_lS9_lT3_lS9_lT4_lS9_S9_l,comdat
.Lfunc_end6:
	.size	_ZN9rocsolver6v33100L10ger_kernelI19rocblas_complex_numIdElPKS3_PKPS3_S8_S8_EEvT0_S9_T1_lT2_lS9_lT3_lS9_lT4_lS9_S9_l, .Lfunc_end6-_ZN9rocsolver6v33100L10ger_kernelI19rocblas_complex_numIdElPKS3_PKPS3_S8_S8_EEvT0_S9_T1_lT2_lS9_lT3_lS9_lT4_lS9_S9_l
                                        ; -- End function
	.set _ZN9rocsolver6v33100L10ger_kernelI19rocblas_complex_numIdElPKS3_PKPS3_S8_S8_EEvT0_S9_T1_lT2_lS9_lT3_lS9_lT4_lS9_S9_l.num_vgpr, 17
	.set _ZN9rocsolver6v33100L10ger_kernelI19rocblas_complex_numIdElPKS3_PKPS3_S8_S8_EEvT0_S9_T1_lT2_lS9_lT3_lS9_lT4_lS9_S9_l.num_agpr, 0
	.set _ZN9rocsolver6v33100L10ger_kernelI19rocblas_complex_numIdElPKS3_PKPS3_S8_S8_EEvT0_S9_T1_lT2_lS9_lT3_lS9_lT4_lS9_S9_l.numbered_sgpr, 28
	.set _ZN9rocsolver6v33100L10ger_kernelI19rocblas_complex_numIdElPKS3_PKPS3_S8_S8_EEvT0_S9_T1_lT2_lS9_lT3_lS9_lT4_lS9_S9_l.num_named_barrier, 0
	.set _ZN9rocsolver6v33100L10ger_kernelI19rocblas_complex_numIdElPKS3_PKPS3_S8_S8_EEvT0_S9_T1_lT2_lS9_lT3_lS9_lT4_lS9_S9_l.private_seg_size, 0
	.set _ZN9rocsolver6v33100L10ger_kernelI19rocblas_complex_numIdElPKS3_PKPS3_S8_S8_EEvT0_S9_T1_lT2_lS9_lT3_lS9_lT4_lS9_S9_l.uses_vcc, 1
	.set _ZN9rocsolver6v33100L10ger_kernelI19rocblas_complex_numIdElPKS3_PKPS3_S8_S8_EEvT0_S9_T1_lT2_lS9_lT3_lS9_lT4_lS9_S9_l.uses_flat_scratch, 0
	.set _ZN9rocsolver6v33100L10ger_kernelI19rocblas_complex_numIdElPKS3_PKPS3_S8_S8_EEvT0_S9_T1_lT2_lS9_lT3_lS9_lT4_lS9_S9_l.has_dyn_sized_stack, 0
	.set _ZN9rocsolver6v33100L10ger_kernelI19rocblas_complex_numIdElPKS3_PKPS3_S8_S8_EEvT0_S9_T1_lT2_lS9_lT3_lS9_lT4_lS9_S9_l.has_recursion, 0
	.set _ZN9rocsolver6v33100L10ger_kernelI19rocblas_complex_numIdElPKS3_PKPS3_S8_S8_EEvT0_S9_T1_lT2_lS9_lT3_lS9_lT4_lS9_S9_l.has_indirect_call, 0
	.section	.AMDGPU.csdata,"",@progbits
; Kernel info:
; codeLenInByte = 616
; TotalNumSgprs: 30
; NumVgprs: 17
; ScratchSize: 0
; MemoryBound: 0
; FloatMode: 240
; IeeeMode: 1
; LDSByteSize: 0 bytes/workgroup (compile time only)
; SGPRBlocks: 0
; VGPRBlocks: 2
; NumSGPRsForWavesPerEU: 30
; NumVGPRsForWavesPerEU: 17
; Occupancy: 16
; WaveLimiterHint : 1
; COMPUTE_PGM_RSRC2:SCRATCH_EN: 0
; COMPUTE_PGM_RSRC2:USER_SGPR: 6
; COMPUTE_PGM_RSRC2:TRAP_HANDLER: 0
; COMPUTE_PGM_RSRC2:TGID_X_EN: 1
; COMPUTE_PGM_RSRC2:TGID_Y_EN: 1
; COMPUTE_PGM_RSRC2:TGID_Z_EN: 1
; COMPUTE_PGM_RSRC2:TIDIG_COMP_CNT: 1
	.section	.text._ZN9rocsolver6v33100L10ger_kernelI19rocblas_complex_numIdElS3_PKPS3_S6_S6_EEvT0_S7_T1_lT2_lS7_lT3_lS7_lT4_lS7_S7_l,"axG",@progbits,_ZN9rocsolver6v33100L10ger_kernelI19rocblas_complex_numIdElS3_PKPS3_S6_S6_EEvT0_S7_T1_lT2_lS7_lT3_lS7_lT4_lS7_S7_l,comdat
	.globl	_ZN9rocsolver6v33100L10ger_kernelI19rocblas_complex_numIdElS3_PKPS3_S6_S6_EEvT0_S7_T1_lT2_lS7_lT3_lS7_lT4_lS7_S7_l ; -- Begin function _ZN9rocsolver6v33100L10ger_kernelI19rocblas_complex_numIdElS3_PKPS3_S6_S6_EEvT0_S7_T1_lT2_lS7_lT3_lS7_lT4_lS7_S7_l
	.p2align	8
	.type	_ZN9rocsolver6v33100L10ger_kernelI19rocblas_complex_numIdElS3_PKPS3_S6_S6_EEvT0_S7_T1_lT2_lS7_lT3_lS7_lT4_lS7_S7_l,@function
_ZN9rocsolver6v33100L10ger_kernelI19rocblas_complex_numIdElS3_PKPS3_S6_S6_EEvT0_S7_T1_lT2_lS7_lT3_lS7_lT4_lS7_S7_l: ; @_ZN9rocsolver6v33100L10ger_kernelI19rocblas_complex_numIdElS3_PKPS3_S6_S6_EEvT0_S7_T1_lT2_lS7_lT3_lS7_lT4_lS7_S7_l
; %bb.0:
	s_clause 0x1
	s_load_dword s9, s[4:5], 0x9c
	s_load_dwordx4 s[0:3], s[4:5], 0x0
	v_mov_b32_e32 v4, 0
	v_mov_b32_e32 v3, v0
	;; [unrolled: 1-line block ×3, first 2 shown]
	s_waitcnt lgkmcnt(0)
	s_lshr_b32 s10, s9, 16
	s_and_b32 s9, s9, 0xffff
	v_mad_u64_u32 v[0:1], null, s10, s7, v[1:2]
	v_mad_u64_u32 v[3:4], null, s9, s6, v[3:4]
	v_cmp_gt_i64_e32 vcc_lo, s[0:1], v[3:4]
	v_cmp_gt_i64_e64 s0, s[2:3], v[0:1]
	s_and_b32 s0, vcc_lo, s0
	s_and_saveexec_b32 s1, s0
	s_cbranch_execz .LBB7_2
; %bb.1:
	s_load_dwordx4 s[0:3], s[4:5], 0x48
	s_mov_b32 s9, 0
	s_lshl_b64 s[6:7], s[8:9], 3
	s_waitcnt lgkmcnt(0)
	s_add_u32 s0, s0, s6
	s_addc_u32 s1, s1, s7
	s_lshl_b64 s[2:3], s[2:3], 4
	s_load_dwordx2 s[0:1], s[0:1], 0x0
	s_clause 0x1
	s_load_dwordx4 s[8:11], s[4:5], 0x28
	s_load_dwordx2 s[12:13], s[4:5], 0x38
	s_waitcnt lgkmcnt(0)
	s_add_u32 s16, s0, s2
	s_addc_u32 s17, s1, s3
	s_add_u32 s0, s8, s6
	s_addc_u32 s1, s9, s7
	v_mul_lo_u32 v2, v4, s12
	s_load_dwordx2 s[0:1], s[0:1], 0x0
	v_mul_lo_u32 v7, v3, s13
	v_mad_u64_u32 v[5:6], null, v3, s12, 0
	s_lshl_b64 s[2:3], s[10:11], 4
	s_load_dwordx2 s[8:9], s[4:5], 0x58
	v_add3_u32 v6, v6, v7, v2
	v_lshlrev_b64 v[5:6], 4, v[5:6]
	s_waitcnt lgkmcnt(0)
	s_add_u32 s0, s0, s2
	s_addc_u32 s1, s1, s3
	v_add_co_u32 v5, vcc_lo, s0, v5
	v_add_co_ci_u32_e64 v6, null, s1, v6, vcc_lo
	v_mul_lo_u32 v2, v1, s8
	v_mul_lo_u32 v11, v0, s9
	v_mad_u64_u32 v[9:10], null, v0, s8, 0
	flat_load_dwordx4 v[5:8], v[5:6]
	s_load_dwordx8 s[8:15], s[4:5], 0x68
	v_add3_u32 v10, v10, v11, v2
	v_lshlrev_b64 v[9:10], 4, v[9:10]
	v_add_co_u32 v9, vcc_lo, s16, v9
	v_add_co_ci_u32_e64 v10, null, s17, v10, vcc_lo
	s_waitcnt lgkmcnt(0)
	s_add_u32 s0, s8, s6
	s_addc_u32 s1, s9, s7
	v_mul_lo_u32 v4, v4, s12
	flat_load_dwordx4 v[9:12], v[9:10]
	s_load_dwordx2 s[0:1], s[0:1], 0x0
	v_mul_lo_u32 v13, v3, s13
	v_mad_u64_u32 v[2:3], null, v3, s12, 0
	v_mul_lo_u32 v14, v1, s14
	v_mul_lo_u32 v15, v0, s15
	v_mad_u64_u32 v[0:1], null, v0, s14, 0
	s_lshl_b64 s[2:3], s[10:11], 4
	v_add3_u32 v3, v3, v13, v4
	v_add3_u32 v1, v1, v15, v14
	v_lshlrev_b64 v[2:3], 4, v[2:3]
	v_lshlrev_b64 v[0:1], 4, v[0:1]
	s_waitcnt lgkmcnt(0)
	s_add_u32 s0, s0, s2
	s_addc_u32 s1, s1, s3
	v_add_co_u32 v2, vcc_lo, s0, v2
	v_add_co_ci_u32_e64 v3, null, s1, v3, vcc_lo
	s_load_dwordx4 s[0:3], s[4:5], 0x10
	v_add_co_u32 v13, vcc_lo, v2, v0
	v_add_co_ci_u32_e64 v14, null, v3, v1, vcc_lo
	flat_load_dwordx4 v[0:3], v[13:14]
	s_waitcnt vmcnt(2) lgkmcnt(0)
	v_mul_f64 v[15:16], s[0:1], v[7:8]
	v_mul_f64 v[7:8], s[2:3], v[7:8]
	v_fma_f64 v[15:16], s[2:3], v[5:6], v[15:16]
	v_fma_f64 v[4:5], s[0:1], v[5:6], -v[7:8]
	s_waitcnt vmcnt(1)
	v_mul_f64 v[6:7], v[11:12], v[15:16]
	v_mul_f64 v[15:16], v[9:10], v[15:16]
	v_fma_f64 v[6:7], v[9:10], v[4:5], -v[6:7]
	v_fma_f64 v[4:5], v[11:12], v[4:5], v[15:16]
	s_waitcnt vmcnt(0)
	v_add_f64 v[0:1], v[0:1], v[6:7]
	v_add_f64 v[2:3], v[4:5], v[2:3]
	flat_store_dwordx4 v[13:14], v[0:3]
.LBB7_2:
	s_endpgm
	.section	.rodata,"a",@progbits
	.p2align	6, 0x0
	.amdhsa_kernel _ZN9rocsolver6v33100L10ger_kernelI19rocblas_complex_numIdElS3_PKPS3_S6_S6_EEvT0_S7_T1_lT2_lS7_lT3_lS7_lT4_lS7_S7_l
		.amdhsa_group_segment_fixed_size 0
		.amdhsa_private_segment_fixed_size 0
		.amdhsa_kernarg_size 400
		.amdhsa_user_sgpr_count 6
		.amdhsa_user_sgpr_private_segment_buffer 1
		.amdhsa_user_sgpr_dispatch_ptr 0
		.amdhsa_user_sgpr_queue_ptr 0
		.amdhsa_user_sgpr_kernarg_segment_ptr 1
		.amdhsa_user_sgpr_dispatch_id 0
		.amdhsa_user_sgpr_flat_scratch_init 0
		.amdhsa_user_sgpr_private_segment_size 0
		.amdhsa_wavefront_size32 1
		.amdhsa_uses_dynamic_stack 0
		.amdhsa_system_sgpr_private_segment_wavefront_offset 0
		.amdhsa_system_sgpr_workgroup_id_x 1
		.amdhsa_system_sgpr_workgroup_id_y 1
		.amdhsa_system_sgpr_workgroup_id_z 1
		.amdhsa_system_sgpr_workgroup_info 0
		.amdhsa_system_vgpr_workitem_id 1
		.amdhsa_next_free_vgpr 17
		.amdhsa_next_free_sgpr 18
		.amdhsa_reserve_vcc 1
		.amdhsa_reserve_flat_scratch 0
		.amdhsa_float_round_mode_32 0
		.amdhsa_float_round_mode_16_64 0
		.amdhsa_float_denorm_mode_32 3
		.amdhsa_float_denorm_mode_16_64 3
		.amdhsa_dx10_clamp 1
		.amdhsa_ieee_mode 1
		.amdhsa_fp16_overflow 0
		.amdhsa_workgroup_processor_mode 1
		.amdhsa_memory_ordered 1
		.amdhsa_forward_progress 1
		.amdhsa_shared_vgpr_count 0
		.amdhsa_exception_fp_ieee_invalid_op 0
		.amdhsa_exception_fp_denorm_src 0
		.amdhsa_exception_fp_ieee_div_zero 0
		.amdhsa_exception_fp_ieee_overflow 0
		.amdhsa_exception_fp_ieee_underflow 0
		.amdhsa_exception_fp_ieee_inexact 0
		.amdhsa_exception_int_div_zero 0
	.end_amdhsa_kernel
	.section	.text._ZN9rocsolver6v33100L10ger_kernelI19rocblas_complex_numIdElS3_PKPS3_S6_S6_EEvT0_S7_T1_lT2_lS7_lT3_lS7_lT4_lS7_S7_l,"axG",@progbits,_ZN9rocsolver6v33100L10ger_kernelI19rocblas_complex_numIdElS3_PKPS3_S6_S6_EEvT0_S7_T1_lT2_lS7_lT3_lS7_lT4_lS7_S7_l,comdat
.Lfunc_end7:
	.size	_ZN9rocsolver6v33100L10ger_kernelI19rocblas_complex_numIdElS3_PKPS3_S6_S6_EEvT0_S7_T1_lT2_lS7_lT3_lS7_lT4_lS7_S7_l, .Lfunc_end7-_ZN9rocsolver6v33100L10ger_kernelI19rocblas_complex_numIdElS3_PKPS3_S6_S6_EEvT0_S7_T1_lT2_lS7_lT3_lS7_lT4_lS7_S7_l
                                        ; -- End function
	.set _ZN9rocsolver6v33100L10ger_kernelI19rocblas_complex_numIdElS3_PKPS3_S6_S6_EEvT0_S7_T1_lT2_lS7_lT3_lS7_lT4_lS7_S7_l.num_vgpr, 17
	.set _ZN9rocsolver6v33100L10ger_kernelI19rocblas_complex_numIdElS3_PKPS3_S6_S6_EEvT0_S7_T1_lT2_lS7_lT3_lS7_lT4_lS7_S7_l.num_agpr, 0
	.set _ZN9rocsolver6v33100L10ger_kernelI19rocblas_complex_numIdElS3_PKPS3_S6_S6_EEvT0_S7_T1_lT2_lS7_lT3_lS7_lT4_lS7_S7_l.numbered_sgpr, 18
	.set _ZN9rocsolver6v33100L10ger_kernelI19rocblas_complex_numIdElS3_PKPS3_S6_S6_EEvT0_S7_T1_lT2_lS7_lT3_lS7_lT4_lS7_S7_l.num_named_barrier, 0
	.set _ZN9rocsolver6v33100L10ger_kernelI19rocblas_complex_numIdElS3_PKPS3_S6_S6_EEvT0_S7_T1_lT2_lS7_lT3_lS7_lT4_lS7_S7_l.private_seg_size, 0
	.set _ZN9rocsolver6v33100L10ger_kernelI19rocblas_complex_numIdElS3_PKPS3_S6_S6_EEvT0_S7_T1_lT2_lS7_lT3_lS7_lT4_lS7_S7_l.uses_vcc, 1
	.set _ZN9rocsolver6v33100L10ger_kernelI19rocblas_complex_numIdElS3_PKPS3_S6_S6_EEvT0_S7_T1_lT2_lS7_lT3_lS7_lT4_lS7_S7_l.uses_flat_scratch, 0
	.set _ZN9rocsolver6v33100L10ger_kernelI19rocblas_complex_numIdElS3_PKPS3_S6_S6_EEvT0_S7_T1_lT2_lS7_lT3_lS7_lT4_lS7_S7_l.has_dyn_sized_stack, 0
	.set _ZN9rocsolver6v33100L10ger_kernelI19rocblas_complex_numIdElS3_PKPS3_S6_S6_EEvT0_S7_T1_lT2_lS7_lT3_lS7_lT4_lS7_S7_l.has_recursion, 0
	.set _ZN9rocsolver6v33100L10ger_kernelI19rocblas_complex_numIdElS3_PKPS3_S6_S6_EEvT0_S7_T1_lT2_lS7_lT3_lS7_lT4_lS7_S7_l.has_indirect_call, 0
	.section	.AMDGPU.csdata,"",@progbits
; Kernel info:
; codeLenInByte = 604
; TotalNumSgprs: 20
; NumVgprs: 17
; ScratchSize: 0
; MemoryBound: 0
; FloatMode: 240
; IeeeMode: 1
; LDSByteSize: 0 bytes/workgroup (compile time only)
; SGPRBlocks: 0
; VGPRBlocks: 2
; NumSGPRsForWavesPerEU: 20
; NumVGPRsForWavesPerEU: 17
; Occupancy: 16
; WaveLimiterHint : 1
; COMPUTE_PGM_RSRC2:SCRATCH_EN: 0
; COMPUTE_PGM_RSRC2:USER_SGPR: 6
; COMPUTE_PGM_RSRC2:TRAP_HANDLER: 0
; COMPUTE_PGM_RSRC2:TGID_X_EN: 1
; COMPUTE_PGM_RSRC2:TGID_Y_EN: 1
; COMPUTE_PGM_RSRC2:TGID_Z_EN: 1
; COMPUTE_PGM_RSRC2:TIDIG_COMP_CNT: 1
	.section	.AMDGPU.gpr_maximums,"",@progbits
	.set amdgpu.max_num_vgpr, 0
	.set amdgpu.max_num_agpr, 0
	.set amdgpu.max_num_sgpr, 0
	.section	.AMDGPU.csdata,"",@progbits
	.type	__hip_cuid_c2c5989c16a8bf5f,@object ; @__hip_cuid_c2c5989c16a8bf5f
	.section	.bss,"aw",@nobits
	.globl	__hip_cuid_c2c5989c16a8bf5f
__hip_cuid_c2c5989c16a8bf5f:
	.byte	0                               ; 0x0
	.size	__hip_cuid_c2c5989c16a8bf5f, 1

	.ident	"AMD clang version 22.0.0git (https://github.com/RadeonOpenCompute/llvm-project roc-7.2.4 26084 f58b06dce1f9c15707c5f808fd002e18c2accf7e)"
	.section	".note.GNU-stack","",@progbits
	.addrsig
	.addrsig_sym __hip_cuid_c2c5989c16a8bf5f
	.amdgpu_metadata
---
amdhsa.kernels:
  - .args:
      - .offset:         0
        .size:           4
        .value_kind:     by_value
      - .offset:         4
        .size:           4
        .value_kind:     by_value
      - .address_space:  global
        .offset:         8
        .size:           8
        .value_kind:     global_buffer
      - .offset:         16
        .size:           8
        .value_kind:     by_value
      - .address_space:  global
        .offset:         24
        .size:           8
        .value_kind:     global_buffer
      - .offset:         32
        .size:           8
        .value_kind:     by_value
      - .offset:         40
        .size:           4
        .value_kind:     by_value
      - .offset:         48
        .size:           8
        .value_kind:     by_value
      - .address_space:  global
        .offset:         56
        .size:           8
        .value_kind:     global_buffer
      - .offset:         64
        .size:           8
        .value_kind:     by_value
      - .offset:         72
        .size:           4
        .value_kind:     by_value
      - .offset:         80
        .size:           8
        .value_kind:     by_value
      - .address_space:  global
        .offset:         88
        .size:           8
        .value_kind:     global_buffer
      - .offset:         96
        .size:           8
        .value_kind:     by_value
      - .offset:         104
        .size:           4
        .value_kind:     by_value
      - .offset:         108
        .size:           4
        .value_kind:     by_value
      - .offset:         112
        .size:           8
        .value_kind:     by_value
      - .offset:         120
        .size:           4
        .value_kind:     hidden_block_count_x
      - .offset:         124
        .size:           4
        .value_kind:     hidden_block_count_y
      - .offset:         128
        .size:           4
        .value_kind:     hidden_block_count_z
      - .offset:         132
        .size:           2
        .value_kind:     hidden_group_size_x
      - .offset:         134
        .size:           2
        .value_kind:     hidden_group_size_y
      - .offset:         136
        .size:           2
        .value_kind:     hidden_group_size_z
      - .offset:         138
        .size:           2
        .value_kind:     hidden_remainder_x
      - .offset:         140
        .size:           2
        .value_kind:     hidden_remainder_y
      - .offset:         142
        .size:           2
        .value_kind:     hidden_remainder_z
      - .offset:         160
        .size:           8
        .value_kind:     hidden_global_offset_x
      - .offset:         168
        .size:           8
        .value_kind:     hidden_global_offset_y
      - .offset:         176
        .size:           8
        .value_kind:     hidden_global_offset_z
      - .offset:         184
        .size:           2
        .value_kind:     hidden_grid_dims
    .group_segment_fixed_size: 0
    .kernarg_segment_align: 8
    .kernarg_segment_size: 376
    .language:       OpenCL C
    .language_version:
      - 2
      - 0
    .max_flat_workgroup_size: 1024
    .name:           _ZN9rocsolver6v33100L10ger_kernelI19rocblas_complex_numIdEiPKS3_PS3_S6_S6_EEvT0_S7_T1_lT2_lS7_lT3_lS7_lT4_lS7_S7_l
    .private_segment_fixed_size: 0
    .sgpr_count:     32
    .sgpr_spill_count: 0
    .symbol:         _ZN9rocsolver6v33100L10ger_kernelI19rocblas_complex_numIdEiPKS3_PS3_S6_S6_EEvT0_S7_T1_lT2_lS7_lT3_lS7_lT4_lS7_S7_l.kd
    .uniform_work_group_size: 1
    .uses_dynamic_stack: false
    .vgpr_count:     17
    .vgpr_spill_count: 0
    .wavefront_size: 32
    .workgroup_processor_mode: 1
  - .args:
      - .offset:         0
        .size:           4
        .value_kind:     by_value
      - .offset:         4
        .size:           4
        .value_kind:     by_value
      - .offset:         8
        .size:           16
        .value_kind:     by_value
      - .offset:         24
        .size:           8
        .value_kind:     by_value
      - .address_space:  global
        .offset:         32
        .size:           8
        .value_kind:     global_buffer
      - .offset:         40
        .size:           8
        .value_kind:     by_value
      - .offset:         48
        .size:           4
        .value_kind:     by_value
      - .offset:         56
        .size:           8
        .value_kind:     by_value
      - .address_space:  global
        .offset:         64
        .size:           8
        .value_kind:     global_buffer
      - .offset:         72
        .size:           8
        .value_kind:     by_value
      - .offset:         80
        .size:           4
        .value_kind:     by_value
      - .offset:         88
        .size:           8
        .value_kind:     by_value
      - .address_space:  global
        .offset:         96
        .size:           8
        .value_kind:     global_buffer
      - .offset:         104
        .size:           8
        .value_kind:     by_value
      - .offset:         112
        .size:           4
        .value_kind:     by_value
      - .offset:         116
        .size:           4
        .value_kind:     by_value
      - .offset:         120
        .size:           8
        .value_kind:     by_value
      - .offset:         128
        .size:           4
        .value_kind:     hidden_block_count_x
      - .offset:         132
        .size:           4
        .value_kind:     hidden_block_count_y
      - .offset:         136
        .size:           4
        .value_kind:     hidden_block_count_z
      - .offset:         140
        .size:           2
        .value_kind:     hidden_group_size_x
      - .offset:         142
        .size:           2
        .value_kind:     hidden_group_size_y
      - .offset:         144
        .size:           2
        .value_kind:     hidden_group_size_z
      - .offset:         146
        .size:           2
        .value_kind:     hidden_remainder_x
      - .offset:         148
        .size:           2
        .value_kind:     hidden_remainder_y
      - .offset:         150
        .size:           2
        .value_kind:     hidden_remainder_z
      - .offset:         168
        .size:           8
        .value_kind:     hidden_global_offset_x
      - .offset:         176
        .size:           8
        .value_kind:     hidden_global_offset_y
      - .offset:         184
        .size:           8
        .value_kind:     hidden_global_offset_z
      - .offset:         192
        .size:           2
        .value_kind:     hidden_grid_dims
    .group_segment_fixed_size: 0
    .kernarg_segment_align: 8
    .kernarg_segment_size: 384
    .language:       OpenCL C
    .language_version:
      - 2
      - 0
    .max_flat_workgroup_size: 1024
    .name:           _ZN9rocsolver6v33100L10ger_kernelI19rocblas_complex_numIdEiS3_PS3_S4_S4_EEvT0_S5_T1_lT2_lS5_lT3_lS5_lT4_lS5_S5_l
    .private_segment_fixed_size: 0
    .sgpr_count:     29
    .sgpr_spill_count: 0
    .symbol:         _ZN9rocsolver6v33100L10ger_kernelI19rocblas_complex_numIdEiS3_PS3_S4_S4_EEvT0_S5_T1_lT2_lS5_lT3_lS5_lT4_lS5_S5_l.kd
    .uniform_work_group_size: 1
    .uses_dynamic_stack: false
    .vgpr_count:     17
    .vgpr_spill_count: 0
    .wavefront_size: 32
    .workgroup_processor_mode: 1
  - .args:
      - .offset:         0
        .size:           4
        .value_kind:     by_value
      - .offset:         4
        .size:           4
        .value_kind:     by_value
      - .address_space:  global
        .offset:         8
        .size:           8
        .value_kind:     global_buffer
      - .offset:         16
        .size:           8
        .value_kind:     by_value
      - .address_space:  global
        .offset:         24
        .size:           8
        .value_kind:     global_buffer
      - .offset:         32
        .size:           8
        .value_kind:     by_value
      - .offset:         40
        .size:           4
        .value_kind:     by_value
      - .offset:         48
        .size:           8
        .value_kind:     by_value
      - .address_space:  global
        .offset:         56
        .size:           8
        .value_kind:     global_buffer
      - .offset:         64
        .size:           8
        .value_kind:     by_value
      - .offset:         72
        .size:           4
        .value_kind:     by_value
      - .offset:         80
        .size:           8
        .value_kind:     by_value
      - .address_space:  global
        .offset:         88
        .size:           8
        .value_kind:     global_buffer
      - .offset:         96
        .size:           8
        .value_kind:     by_value
      - .offset:         104
        .size:           4
        .value_kind:     by_value
      - .offset:         108
        .size:           4
        .value_kind:     by_value
      - .offset:         112
        .size:           8
        .value_kind:     by_value
      - .offset:         120
        .size:           4
        .value_kind:     hidden_block_count_x
      - .offset:         124
        .size:           4
        .value_kind:     hidden_block_count_y
      - .offset:         128
        .size:           4
        .value_kind:     hidden_block_count_z
      - .offset:         132
        .size:           2
        .value_kind:     hidden_group_size_x
      - .offset:         134
        .size:           2
        .value_kind:     hidden_group_size_y
      - .offset:         136
        .size:           2
        .value_kind:     hidden_group_size_z
      - .offset:         138
        .size:           2
        .value_kind:     hidden_remainder_x
      - .offset:         140
        .size:           2
        .value_kind:     hidden_remainder_y
      - .offset:         142
        .size:           2
        .value_kind:     hidden_remainder_z
      - .offset:         160
        .size:           8
        .value_kind:     hidden_global_offset_x
      - .offset:         168
        .size:           8
        .value_kind:     hidden_global_offset_y
      - .offset:         176
        .size:           8
        .value_kind:     hidden_global_offset_z
      - .offset:         184
        .size:           2
        .value_kind:     hidden_grid_dims
    .group_segment_fixed_size: 0
    .kernarg_segment_align: 8
    .kernarg_segment_size: 376
    .language:       OpenCL C
    .language_version:
      - 2
      - 0
    .max_flat_workgroup_size: 1024
    .name:           _ZN9rocsolver6v33100L10ger_kernelI19rocblas_complex_numIdEiPKS3_PKPS3_S8_S8_EEvT0_S9_T1_lT2_lS9_lT3_lS9_lT4_lS9_S9_l
    .private_segment_fixed_size: 0
    .sgpr_count:     23
    .sgpr_spill_count: 0
    .symbol:         _ZN9rocsolver6v33100L10ger_kernelI19rocblas_complex_numIdEiPKS3_PKPS3_S8_S8_EEvT0_S9_T1_lT2_lS9_lT3_lS9_lT4_lS9_S9_l.kd
    .uniform_work_group_size: 1
    .uses_dynamic_stack: false
    .vgpr_count:     17
    .vgpr_spill_count: 0
    .wavefront_size: 32
    .workgroup_processor_mode: 1
  - .args:
      - .offset:         0
        .size:           4
        .value_kind:     by_value
      - .offset:         4
        .size:           4
        .value_kind:     by_value
      - .offset:         8
        .size:           16
        .value_kind:     by_value
      - .offset:         24
        .size:           8
        .value_kind:     by_value
      - .address_space:  global
        .offset:         32
        .size:           8
        .value_kind:     global_buffer
      - .offset:         40
        .size:           8
        .value_kind:     by_value
      - .offset:         48
        .size:           4
        .value_kind:     by_value
      - .offset:         56
        .size:           8
        .value_kind:     by_value
      - .address_space:  global
        .offset:         64
        .size:           8
        .value_kind:     global_buffer
      - .offset:         72
        .size:           8
        .value_kind:     by_value
      - .offset:         80
        .size:           4
        .value_kind:     by_value
      - .offset:         88
        .size:           8
        .value_kind:     by_value
      - .address_space:  global
        .offset:         96
        .size:           8
        .value_kind:     global_buffer
      - .offset:         104
        .size:           8
        .value_kind:     by_value
      - .offset:         112
        .size:           4
        .value_kind:     by_value
      - .offset:         116
        .size:           4
        .value_kind:     by_value
      - .offset:         120
        .size:           8
        .value_kind:     by_value
      - .offset:         128
        .size:           4
        .value_kind:     hidden_block_count_x
      - .offset:         132
        .size:           4
        .value_kind:     hidden_block_count_y
      - .offset:         136
        .size:           4
        .value_kind:     hidden_block_count_z
      - .offset:         140
        .size:           2
        .value_kind:     hidden_group_size_x
      - .offset:         142
        .size:           2
        .value_kind:     hidden_group_size_y
      - .offset:         144
        .size:           2
        .value_kind:     hidden_group_size_z
      - .offset:         146
        .size:           2
        .value_kind:     hidden_remainder_x
      - .offset:         148
        .size:           2
        .value_kind:     hidden_remainder_y
      - .offset:         150
        .size:           2
        .value_kind:     hidden_remainder_z
      - .offset:         168
        .size:           8
        .value_kind:     hidden_global_offset_x
      - .offset:         176
        .size:           8
        .value_kind:     hidden_global_offset_y
      - .offset:         184
        .size:           8
        .value_kind:     hidden_global_offset_z
      - .offset:         192
        .size:           2
        .value_kind:     hidden_grid_dims
    .group_segment_fixed_size: 0
    .kernarg_segment_align: 8
    .kernarg_segment_size: 384
    .language:       OpenCL C
    .language_version:
      - 2
      - 0
    .max_flat_workgroup_size: 1024
    .name:           _ZN9rocsolver6v33100L10ger_kernelI19rocblas_complex_numIdEiS3_PKPS3_S6_S6_EEvT0_S7_T1_lT2_lS7_lT3_lS7_lT4_lS7_S7_l
    .private_segment_fixed_size: 0
    .sgpr_count:     18
    .sgpr_spill_count: 0
    .symbol:         _ZN9rocsolver6v33100L10ger_kernelI19rocblas_complex_numIdEiS3_PKPS3_S6_S6_EEvT0_S7_T1_lT2_lS7_lT3_lS7_lT4_lS7_S7_l.kd
    .uniform_work_group_size: 1
    .uses_dynamic_stack: false
    .vgpr_count:     17
    .vgpr_spill_count: 0
    .wavefront_size: 32
    .workgroup_processor_mode: 1
  - .args:
      - .offset:         0
        .size:           8
        .value_kind:     by_value
      - .offset:         8
        .size:           8
        .value_kind:     by_value
      - .address_space:  global
        .offset:         16
        .size:           8
        .value_kind:     global_buffer
      - .offset:         24
        .size:           8
        .value_kind:     by_value
      - .address_space:  global
        .offset:         32
        .size:           8
        .value_kind:     global_buffer
      - .offset:         40
        .size:           8
        .value_kind:     by_value
      - .offset:         48
        .size:           8
        .value_kind:     by_value
      - .offset:         56
        .size:           8
        .value_kind:     by_value
      - .address_space:  global
        .offset:         64
        .size:           8
        .value_kind:     global_buffer
      - .offset:         72
        .size:           8
        .value_kind:     by_value
      - .offset:         80
        .size:           8
        .value_kind:     by_value
      - .offset:         88
        .size:           8
        .value_kind:     by_value
      - .address_space:  global
        .offset:         96
        .size:           8
        .value_kind:     global_buffer
      - .offset:         104
        .size:           8
        .value_kind:     by_value
      - .offset:         112
        .size:           8
        .value_kind:     by_value
      - .offset:         120
        .size:           8
        .value_kind:     by_value
      - .offset:         128
        .size:           8
        .value_kind:     by_value
      - .offset:         136
        .size:           4
        .value_kind:     hidden_block_count_x
      - .offset:         140
        .size:           4
        .value_kind:     hidden_block_count_y
      - .offset:         144
        .size:           4
        .value_kind:     hidden_block_count_z
      - .offset:         148
        .size:           2
        .value_kind:     hidden_group_size_x
      - .offset:         150
        .size:           2
        .value_kind:     hidden_group_size_y
      - .offset:         152
        .size:           2
        .value_kind:     hidden_group_size_z
      - .offset:         154
        .size:           2
        .value_kind:     hidden_remainder_x
      - .offset:         156
        .size:           2
        .value_kind:     hidden_remainder_y
      - .offset:         158
        .size:           2
        .value_kind:     hidden_remainder_z
      - .offset:         176
        .size:           8
        .value_kind:     hidden_global_offset_x
      - .offset:         184
        .size:           8
        .value_kind:     hidden_global_offset_y
      - .offset:         192
        .size:           8
        .value_kind:     hidden_global_offset_z
      - .offset:         200
        .size:           2
        .value_kind:     hidden_grid_dims
    .group_segment_fixed_size: 0
    .kernarg_segment_align: 8
    .kernarg_segment_size: 392
    .language:       OpenCL C
    .language_version:
      - 2
      - 0
    .max_flat_workgroup_size: 1024
    .name:           _ZN9rocsolver6v33100L10ger_kernelI19rocblas_complex_numIdElPKS3_PS3_S6_S6_EEvT0_S7_T1_lT2_lS7_lT3_lS7_lT4_lS7_S7_l
    .private_segment_fixed_size: 0
    .sgpr_count:     54
    .sgpr_spill_count: 0
    .symbol:         _ZN9rocsolver6v33100L10ger_kernelI19rocblas_complex_numIdElPKS3_PS3_S6_S6_EEvT0_S7_T1_lT2_lS7_lT3_lS7_lT4_lS7_S7_l.kd
    .uniform_work_group_size: 1
    .uses_dynamic_stack: false
    .vgpr_count:     17
    .vgpr_spill_count: 0
    .wavefront_size: 32
    .workgroup_processor_mode: 1
  - .args:
      - .offset:         0
        .size:           8
        .value_kind:     by_value
      - .offset:         8
        .size:           8
        .value_kind:     by_value
      - .offset:         16
        .size:           16
        .value_kind:     by_value
      - .offset:         32
        .size:           8
        .value_kind:     by_value
      - .address_space:  global
        .offset:         40
        .size:           8
        .value_kind:     global_buffer
      - .offset:         48
        .size:           8
        .value_kind:     by_value
      - .offset:         56
        .size:           8
        .value_kind:     by_value
      - .offset:         64
        .size:           8
        .value_kind:     by_value
      - .address_space:  global
        .offset:         72
        .size:           8
        .value_kind:     global_buffer
      - .offset:         80
        .size:           8
        .value_kind:     by_value
      - .offset:         88
        .size:           8
        .value_kind:     by_value
      - .offset:         96
        .size:           8
        .value_kind:     by_value
      - .address_space:  global
        .offset:         104
        .size:           8
        .value_kind:     global_buffer
      - .offset:         112
        .size:           8
        .value_kind:     by_value
      - .offset:         120
        .size:           8
        .value_kind:     by_value
      - .offset:         128
        .size:           8
        .value_kind:     by_value
      - .offset:         136
        .size:           8
        .value_kind:     by_value
      - .offset:         144
        .size:           4
        .value_kind:     hidden_block_count_x
      - .offset:         148
        .size:           4
        .value_kind:     hidden_block_count_y
      - .offset:         152
        .size:           4
        .value_kind:     hidden_block_count_z
      - .offset:         156
        .size:           2
        .value_kind:     hidden_group_size_x
      - .offset:         158
        .size:           2
        .value_kind:     hidden_group_size_y
      - .offset:         160
        .size:           2
        .value_kind:     hidden_group_size_z
      - .offset:         162
        .size:           2
        .value_kind:     hidden_remainder_x
      - .offset:         164
        .size:           2
        .value_kind:     hidden_remainder_y
      - .offset:         166
        .size:           2
        .value_kind:     hidden_remainder_z
      - .offset:         184
        .size:           8
        .value_kind:     hidden_global_offset_x
      - .offset:         192
        .size:           8
        .value_kind:     hidden_global_offset_y
      - .offset:         200
        .size:           8
        .value_kind:     hidden_global_offset_z
      - .offset:         208
        .size:           2
        .value_kind:     hidden_grid_dims
    .group_segment_fixed_size: 0
    .kernarg_segment_align: 8
    .kernarg_segment_size: 400
    .language:       OpenCL C
    .language_version:
      - 2
      - 0
    .max_flat_workgroup_size: 1024
    .name:           _ZN9rocsolver6v33100L10ger_kernelI19rocblas_complex_numIdElS3_PS3_S4_S4_EEvT0_S5_T1_lT2_lS5_lT3_lS5_lT4_lS5_S5_l
    .private_segment_fixed_size: 0
    .sgpr_count:     30
    .sgpr_spill_count: 0
    .symbol:         _ZN9rocsolver6v33100L10ger_kernelI19rocblas_complex_numIdElS3_PS3_S4_S4_EEvT0_S5_T1_lT2_lS5_lT3_lS5_lT4_lS5_S5_l.kd
    .uniform_work_group_size: 1
    .uses_dynamic_stack: false
    .vgpr_count:     17
    .vgpr_spill_count: 0
    .wavefront_size: 32
    .workgroup_processor_mode: 1
  - .args:
      - .offset:         0
        .size:           8
        .value_kind:     by_value
      - .offset:         8
        .size:           8
        .value_kind:     by_value
      - .address_space:  global
        .offset:         16
        .size:           8
        .value_kind:     global_buffer
      - .offset:         24
        .size:           8
        .value_kind:     by_value
      - .address_space:  global
        .offset:         32
        .size:           8
        .value_kind:     global_buffer
      - .offset:         40
        .size:           8
        .value_kind:     by_value
      - .offset:         48
        .size:           8
        .value_kind:     by_value
      - .offset:         56
        .size:           8
        .value_kind:     by_value
      - .address_space:  global
        .offset:         64
        .size:           8
        .value_kind:     global_buffer
      - .offset:         72
        .size:           8
        .value_kind:     by_value
      - .offset:         80
        .size:           8
        .value_kind:     by_value
      - .offset:         88
        .size:           8
        .value_kind:     by_value
      - .address_space:  global
        .offset:         96
        .size:           8
        .value_kind:     global_buffer
      - .offset:         104
        .size:           8
        .value_kind:     by_value
      - .offset:         112
        .size:           8
        .value_kind:     by_value
      - .offset:         120
        .size:           8
        .value_kind:     by_value
      - .offset:         128
        .size:           8
        .value_kind:     by_value
      - .offset:         136
        .size:           4
        .value_kind:     hidden_block_count_x
      - .offset:         140
        .size:           4
        .value_kind:     hidden_block_count_y
      - .offset:         144
        .size:           4
        .value_kind:     hidden_block_count_z
      - .offset:         148
        .size:           2
        .value_kind:     hidden_group_size_x
      - .offset:         150
        .size:           2
        .value_kind:     hidden_group_size_y
      - .offset:         152
        .size:           2
        .value_kind:     hidden_group_size_z
      - .offset:         154
        .size:           2
        .value_kind:     hidden_remainder_x
      - .offset:         156
        .size:           2
        .value_kind:     hidden_remainder_y
      - .offset:         158
        .size:           2
        .value_kind:     hidden_remainder_z
      - .offset:         176
        .size:           8
        .value_kind:     hidden_global_offset_x
      - .offset:         184
        .size:           8
        .value_kind:     hidden_global_offset_y
      - .offset:         192
        .size:           8
        .value_kind:     hidden_global_offset_z
      - .offset:         200
        .size:           2
        .value_kind:     hidden_grid_dims
    .group_segment_fixed_size: 0
    .kernarg_segment_align: 8
    .kernarg_segment_size: 392
    .language:       OpenCL C
    .language_version:
      - 2
      - 0
    .max_flat_workgroup_size: 1024
    .name:           _ZN9rocsolver6v33100L10ger_kernelI19rocblas_complex_numIdElPKS3_PKPS3_S8_S8_EEvT0_S9_T1_lT2_lS9_lT3_lS9_lT4_lS9_S9_l
    .private_segment_fixed_size: 0
    .sgpr_count:     30
    .sgpr_spill_count: 0
    .symbol:         _ZN9rocsolver6v33100L10ger_kernelI19rocblas_complex_numIdElPKS3_PKPS3_S8_S8_EEvT0_S9_T1_lT2_lS9_lT3_lS9_lT4_lS9_S9_l.kd
    .uniform_work_group_size: 1
    .uses_dynamic_stack: false
    .vgpr_count:     17
    .vgpr_spill_count: 0
    .wavefront_size: 32
    .workgroup_processor_mode: 1
  - .args:
      - .offset:         0
        .size:           8
        .value_kind:     by_value
      - .offset:         8
        .size:           8
        .value_kind:     by_value
      - .offset:         16
        .size:           16
        .value_kind:     by_value
      - .offset:         32
        .size:           8
        .value_kind:     by_value
      - .address_space:  global
        .offset:         40
        .size:           8
        .value_kind:     global_buffer
      - .offset:         48
        .size:           8
        .value_kind:     by_value
      - .offset:         56
        .size:           8
        .value_kind:     by_value
      - .offset:         64
        .size:           8
        .value_kind:     by_value
      - .address_space:  global
        .offset:         72
        .size:           8
        .value_kind:     global_buffer
      - .offset:         80
        .size:           8
        .value_kind:     by_value
      - .offset:         88
        .size:           8
        .value_kind:     by_value
      - .offset:         96
        .size:           8
        .value_kind:     by_value
      - .address_space:  global
        .offset:         104
        .size:           8
        .value_kind:     global_buffer
      - .offset:         112
        .size:           8
        .value_kind:     by_value
      - .offset:         120
        .size:           8
        .value_kind:     by_value
      - .offset:         128
        .size:           8
        .value_kind:     by_value
      - .offset:         136
        .size:           8
        .value_kind:     by_value
      - .offset:         144
        .size:           4
        .value_kind:     hidden_block_count_x
      - .offset:         148
        .size:           4
        .value_kind:     hidden_block_count_y
      - .offset:         152
        .size:           4
        .value_kind:     hidden_block_count_z
      - .offset:         156
        .size:           2
        .value_kind:     hidden_group_size_x
      - .offset:         158
        .size:           2
        .value_kind:     hidden_group_size_y
      - .offset:         160
        .size:           2
        .value_kind:     hidden_group_size_z
      - .offset:         162
        .size:           2
        .value_kind:     hidden_remainder_x
      - .offset:         164
        .size:           2
        .value_kind:     hidden_remainder_y
      - .offset:         166
        .size:           2
        .value_kind:     hidden_remainder_z
      - .offset:         184
        .size:           8
        .value_kind:     hidden_global_offset_x
      - .offset:         192
        .size:           8
        .value_kind:     hidden_global_offset_y
      - .offset:         200
        .size:           8
        .value_kind:     hidden_global_offset_z
      - .offset:         208
        .size:           2
        .value_kind:     hidden_grid_dims
    .group_segment_fixed_size: 0
    .kernarg_segment_align: 8
    .kernarg_segment_size: 400
    .language:       OpenCL C
    .language_version:
      - 2
      - 0
    .max_flat_workgroup_size: 1024
    .name:           _ZN9rocsolver6v33100L10ger_kernelI19rocblas_complex_numIdElS3_PKPS3_S6_S6_EEvT0_S7_T1_lT2_lS7_lT3_lS7_lT4_lS7_S7_l
    .private_segment_fixed_size: 0
    .sgpr_count:     20
    .sgpr_spill_count: 0
    .symbol:         _ZN9rocsolver6v33100L10ger_kernelI19rocblas_complex_numIdElS3_PKPS3_S6_S6_EEvT0_S7_T1_lT2_lS7_lT3_lS7_lT4_lS7_S7_l.kd
    .uniform_work_group_size: 1
    .uses_dynamic_stack: false
    .vgpr_count:     17
    .vgpr_spill_count: 0
    .wavefront_size: 32
    .workgroup_processor_mode: 1
amdhsa.target:   amdgcn-amd-amdhsa--gfx1030
amdhsa.version:
  - 1
  - 2
...

	.end_amdgpu_metadata
